;; amdgpu-corpus repo=ROCm/rocFFT kind=compiled arch=gfx950 opt=O3
	.text
	.amdgcn_target "amdgcn-amd-amdhsa--gfx950"
	.amdhsa_code_object_version 6
	.protected	bluestein_single_fwd_len1088_dim1_half_op_CI_CI ; -- Begin function bluestein_single_fwd_len1088_dim1_half_op_CI_CI
	.globl	bluestein_single_fwd_len1088_dim1_half_op_CI_CI
	.p2align	8
	.type	bluestein_single_fwd_len1088_dim1_half_op_CI_CI,@function
bluestein_single_fwd_len1088_dim1_half_op_CI_CI: ; @bluestein_single_fwd_len1088_dim1_half_op_CI_CI
; %bb.0:
	s_load_dwordx4 s[8:11], s[0:1], 0x28
	v_mul_u32_u24_e32 v1, 0x3c4, v0
	v_lshrrev_b32_e32 v2, 16, v1
	v_mad_u64_u32 v[30:31], s[2:3], s2, 3, v[2:3]
	v_mov_b32_e32 v31, 0
	s_waitcnt lgkmcnt(0)
	v_cmp_gt_u64_e32 vcc, s[8:9], v[30:31]
	s_and_saveexec_b64 s[2:3], vcc
	s_cbranch_execz .LBB0_15
; %bb.1:
	v_mul_lo_u16_e32 v1, 0x44, v2
	s_mov_b32 s4, 0xaaaaaaab
	v_sub_u16_e32 v28, v0, v1
	v_mul_hi_u32 v0, v30, s4
	v_lshrrev_b32_e32 v0, 1, v0
	s_load_dwordx2 s[12:13], s[0:1], 0x0
	s_load_dwordx2 s[2:3], s[0:1], 0x38
	v_lshl_add_u32 v0, v0, 1, v0
	v_sub_u32_e32 v0, v30, v0
	v_mul_u32_u24_e32 v27, 0x440, v0
	v_or_b32_e32 v0, v27, v28
	v_cmp_gt_u16_e32 vcc, 64, v28
	v_lshlrev_b32_e32 v19, 2, v28
	v_lshlrev_b32_e32 v29, 2, v0
	v_or_b32_e32 v23, 64, v28
	s_and_saveexec_b64 s[8:9], vcc
	s_cbranch_execz .LBB0_3
; %bb.2:
	s_load_dwordx2 s[4:5], s[0:1], 0x18
	v_mov_b32_e32 v0, s10
	v_mov_b32_e32 v1, s11
	v_or_b32_e32 v35, 0x400, v28
	v_or_b32_e32 v11, 0x100, v28
	s_waitcnt lgkmcnt(0)
	s_load_dwordx4 s[4:7], s[4:5], 0x0
	v_or_b32_e32 v13, 0x140, v28
	v_or_b32_e32 v15, 0x180, v28
	;; [unrolled: 1-line block ×4, first 2 shown]
	s_waitcnt lgkmcnt(0)
	v_mad_u64_u32 v[2:3], s[10:11], s6, v30, 0
	v_mad_u64_u32 v[4:5], s[10:11], s4, v28, 0
	v_mov_b32_e32 v6, v3
	v_mov_b32_e32 v8, v5
	v_mad_u64_u32 v[6:7], s[6:7], s7, v30, v[6:7]
	v_mov_b32_e32 v3, v6
	v_mad_u64_u32 v[6:7], s[6:7], s5, v28, v[8:9]
	v_mov_b32_e32 v5, v6
	v_lshl_add_u64 v[0:1], v[2:3], 2, v[0:1]
	v_lshl_add_u64 v[2:3], v[4:5], 2, v[0:1]
	v_mad_u64_u32 v[4:5], s[6:7], s4, v23, 0
	v_mov_b32_e32 v6, v5
	v_mad_u64_u32 v[6:7], s[6:7], s5, v23, v[6:7]
	v_mov_b32_e32 v5, v6
	v_lshl_add_u64 v[4:5], v[4:5], 2, v[0:1]
	global_load_dword v18, v[2:3], off
	global_load_dword v20, v[4:5], off
	global_load_dword v21, v19, s[12:13]
	v_or_b32_e32 v5, 0x80, v28
	v_mad_u64_u32 v[2:3], s[6:7], s4, v5, 0
	v_mov_b32_e32 v4, v3
	v_mad_u64_u32 v[4:5], s[6:7], s5, v5, v[4:5]
	global_load_dword v22, v19, s[12:13] offset:256
	global_load_dword v24, v19, s[12:13] offset:512
	v_mov_b32_e32 v3, v4
	v_lshl_add_u64 v[2:3], v[2:3], 2, v[0:1]
	v_or_b32_e32 v5, 0xc0, v28
	global_load_dword v25, v[2:3], off
	v_mad_u64_u32 v[2:3], s[6:7], s4, v5, 0
	v_mov_b32_e32 v4, v3
	v_mad_u64_u32 v[4:5], s[6:7], s5, v5, v[4:5]
	v_mov_b32_e32 v3, v4
	v_lshl_add_u64 v[2:3], v[2:3], 2, v[0:1]
	global_load_dword v26, v[2:3], off
	global_load_dword v31, v19, s[12:13] offset:768
	v_lshlrev_b32_e32 v2, 2, v35
	global_load_dword v32, v19, s[12:13] offset:1024
	global_load_dword v33, v19, s[12:13] offset:1280
	;; [unrolled: 1-line block ×3, first 2 shown]
	global_load_dword v36, v2, s[12:13]
	v_mad_u64_u32 v[2:3], s[6:7], s4, v11, 0
	v_mad_u64_u32 v[4:5], s[6:7], s4, v13, 0
	;; [unrolled: 1-line block ×4, first 2 shown]
	v_mov_b32_e32 v10, v3
	v_mov_b32_e32 v12, v5
	;; [unrolled: 1-line block ×4, first 2 shown]
	v_mad_u64_u32 v[10:11], s[6:7], s5, v11, v[10:11]
	v_mad_u64_u32 v[12:13], s[6:7], s5, v13, v[12:13]
	;; [unrolled: 1-line block ×4, first 2 shown]
	v_mov_b32_e32 v3, v10
	v_mov_b32_e32 v5, v12
	;; [unrolled: 1-line block ×4, first 2 shown]
	v_lshl_add_u64 v[2:3], v[2:3], 2, v[0:1]
	v_lshl_add_u64 v[4:5], v[4:5], 2, v[0:1]
	;; [unrolled: 1-line block ×4, first 2 shown]
	global_load_dword v12, v[2:3], off
	global_load_dword v13, v[4:5], off
	global_load_dword v14, v[6:7], off
	global_load_dword v15, v[8:9], off
	v_lshl_add_u32 v16, v27, 2, v19
	v_or_b32_e32 v7, 0x240, v28
	v_or_b32_e32 v9, 0x280, v28
	v_or_b32_e32 v11, 0x2c0, v28
	s_waitcnt vmcnt(15)
	v_lshrrev_b32_e32 v2, 16, v18
	s_waitcnt vmcnt(14)
	v_lshrrev_b32_e32 v4, 16, v20
	s_waitcnt vmcnt(13)
	v_mul_f16_sdwa v3, v21, v18 dst_sel:DWORD dst_unused:UNUSED_PAD src0_sel:WORD_1 src1_sel:DWORD
	v_mul_f16_sdwa v5, v21, v2 dst_sel:DWORD dst_unused:UNUSED_PAD src0_sel:WORD_1 src1_sel:DWORD
	v_fma_f16 v2, v21, v2, -v3
	v_fma_f16 v5, v21, v18, v5
	v_pack_b32_f16 v2, v5, v2
	ds_write_b32 v29, v2
	s_waitcnt vmcnt(12)
	v_mul_f16_sdwa v3, v22, v4 dst_sel:DWORD dst_unused:UNUSED_PAD src0_sel:WORD_1 src1_sel:DWORD
	v_mul_f16_sdwa v2, v22, v20 dst_sel:DWORD dst_unused:UNUSED_PAD src0_sel:WORD_1 src1_sel:DWORD
	v_fma_f16 v3, v22, v20, v3
	v_fma_f16 v2, v22, v4, -v2
	v_pack_b32_f16 v2, v3, v2
	s_waitcnt vmcnt(10)
	v_lshrrev_b32_e32 v3, 16, v25
	v_mul_f16_sdwa v4, v24, v3 dst_sel:DWORD dst_unused:UNUSED_PAD src0_sel:WORD_1 src1_sel:DWORD
	v_mul_f16_sdwa v5, v24, v25 dst_sel:DWORD dst_unused:UNUSED_PAD src0_sel:WORD_1 src1_sel:DWORD
	v_fma_f16 v4, v24, v25, v4
	v_fma_f16 v3, v24, v3, -v5
	v_pack_b32_f16 v3, v4, v3
	ds_write2st64_b32 v16, v2, v3 offset0:1 offset1:2
	s_waitcnt vmcnt(9)
	v_lshrrev_b32_e32 v2, 16, v26
	s_waitcnt vmcnt(8)
	v_mul_f16_sdwa v3, v31, v2 dst_sel:DWORD dst_unused:UNUSED_PAD src0_sel:WORD_1 src1_sel:DWORD
	v_fma_f16 v17, v31, v26, v3
	v_mul_f16_sdwa v3, v31, v26 dst_sel:DWORD dst_unused:UNUSED_PAD src0_sel:WORD_1 src1_sel:DWORD
	v_or_b32_e32 v5, 0x200, v28
	v_fma_f16 v18, v31, v2, -v3
	v_mad_u64_u32 v[2:3], s[6:7], s4, v5, 0
	v_mov_b32_e32 v4, v3
	v_mad_u64_u32 v[4:5], s[6:7], s5, v5, v[4:5]
	v_mov_b32_e32 v3, v4
	v_mad_u64_u32 v[4:5], s[6:7], s4, v7, 0
	v_mov_b32_e32 v6, v5
	v_mad_u64_u32 v[6:7], s[6:7], s5, v7, v[6:7]
	v_mov_b32_e32 v5, v6
	v_mad_u64_u32 v[6:7], s[6:7], s4, v9, 0
	v_mov_b32_e32 v8, v7
	v_mad_u64_u32 v[8:9], s[6:7], s5, v9, v[8:9]
	v_mov_b32_e32 v7, v8
	v_mad_u64_u32 v[8:9], s[6:7], s4, v11, 0
	v_mov_b32_e32 v10, v9
	v_mad_u64_u32 v[10:11], s[6:7], s5, v11, v[10:11]
	v_lshl_add_u64 v[2:3], v[2:3], 2, v[0:1]
	v_or_b32_e32 v11, 0x300, v28
	global_load_dword v20, v19, s[12:13] offset:1792
	global_load_dword v21, v19, s[12:13] offset:2048
	;; [unrolled: 1-line block ×3, first 2 shown]
	global_load_dword v24, v[2:3], off
	v_mad_u64_u32 v[2:3], s[6:7], s4, v11, 0
	v_mov_b32_e32 v9, v10
	v_mov_b32_e32 v10, v3
	v_mad_u64_u32 v[10:11], s[6:7], s5, v11, v[10:11]
	v_lshl_add_u64 v[4:5], v[4:5], 2, v[0:1]
	v_mov_b32_e32 v3, v10
	v_lshl_add_u64 v[6:7], v[6:7], 2, v[0:1]
	global_load_dword v10, v[4:5], off
	v_lshl_add_u64 v[2:3], v[2:3], 2, v[0:1]
	v_or_b32_e32 v5, 0x340, v28
	v_lshl_add_u64 v[8:9], v[8:9], 2, v[0:1]
	global_load_dword v11, v[6:7], off
	global_load_dword v25, v[8:9], off
	;; [unrolled: 1-line block ×3, first 2 shown]
	v_mad_u64_u32 v[2:3], s[6:7], s4, v5, 0
	v_mov_b32_e32 v4, v3
	v_mad_u64_u32 v[4:5], s[6:7], s5, v5, v[4:5]
	v_or_b32_e32 v7, 0x380, v28
	v_mov_b32_e32 v3, v4
	v_mad_u64_u32 v[4:5], s[6:7], s4, v7, 0
	v_mov_b32_e32 v6, v5
	v_mad_u64_u32 v[6:7], s[6:7], s5, v7, v[6:7]
	global_load_dword v8, v19, s[12:13] offset:2560
	global_load_dword v9, v19, s[12:13] offset:2816
	;; [unrolled: 1-line block ×3, first 2 shown]
	v_lshl_add_u64 v[2:3], v[2:3], 2, v[0:1]
	global_load_dword v7, v19, s[12:13] offset:3328
	global_load_dword v37, v19, s[12:13] offset:3584
	global_load_dword v38, v[2:3], off
	v_mov_b32_e32 v5, v6
	v_mad_u64_u32 v[2:3], s[6:7], s4, v39, 0
	v_lshl_add_u64 v[4:5], v[4:5], 2, v[0:1]
	v_mov_b32_e32 v6, v3
	global_load_dword v40, v[4:5], off
	s_waitcnt vmcnt(3)
	v_mad_u64_u32 v[4:5], s[6:7], s5, v39, v[6:7]
	v_mov_b32_e32 v3, v4
	v_lshl_add_u64 v[2:3], v[2:3], 2, v[0:1]
	global_load_dword v6, v[2:3], off
	global_load_dword v39, v19, s[12:13] offset:3840
	v_mad_u64_u32 v[2:3], s[6:7], s4, v35, 0
	v_mov_b32_e32 v4, v3
	v_mad_u64_u32 v[4:5], s[4:5], s5, v35, v[4:5]
	v_mov_b32_e32 v3, v4
	v_lshl_add_u64 v[0:1], v[2:3], 2, v[0:1]
	global_load_dword v0, v[0:1], off
	v_lshrrev_b32_e32 v2, 16, v12
	v_mul_f16_sdwa v3, v32, v2 dst_sel:DWORD dst_unused:UNUSED_PAD src0_sel:WORD_1 src1_sel:DWORD
	v_mul_f16_sdwa v4, v32, v12 dst_sel:DWORD dst_unused:UNUSED_PAD src0_sel:WORD_1 src1_sel:DWORD
	v_fma_f16 v3, v32, v12, v3
	v_fma_f16 v2, v32, v2, -v4
	v_pack_b32_f16 v1, v17, v18
	v_pack_b32_f16 v2, v3, v2
	ds_write2st64_b32 v16, v1, v2 offset0:3 offset1:4
	v_lshrrev_b32_e32 v1, 16, v13
	v_mul_f16_sdwa v2, v33, v1 dst_sel:DWORD dst_unused:UNUSED_PAD src0_sel:WORD_1 src1_sel:DWORD
	v_mul_f16_sdwa v3, v33, v13 dst_sel:DWORD dst_unused:UNUSED_PAD src0_sel:WORD_1 src1_sel:DWORD
	v_fma_f16 v2, v33, v13, v2
	v_fma_f16 v1, v33, v1, -v3
	v_pack_b32_f16 v1, v2, v1
	v_lshrrev_b32_e32 v2, 16, v14
	v_mul_f16_sdwa v3, v34, v2 dst_sel:DWORD dst_unused:UNUSED_PAD src0_sel:WORD_1 src1_sel:DWORD
	v_mul_f16_sdwa v4, v34, v14 dst_sel:DWORD dst_unused:UNUSED_PAD src0_sel:WORD_1 src1_sel:DWORD
	v_fma_f16 v3, v34, v14, v3
	v_fma_f16 v2, v34, v2, -v4
	v_pack_b32_f16 v2, v3, v2
	ds_write2st64_b32 v16, v1, v2 offset0:5 offset1:6
	v_lshrrev_b32_e32 v1, 16, v15
	v_mul_f16_sdwa v2, v20, v1 dst_sel:DWORD dst_unused:UNUSED_PAD src0_sel:WORD_1 src1_sel:DWORD
	v_mul_f16_sdwa v3, v20, v15 dst_sel:DWORD dst_unused:UNUSED_PAD src0_sel:WORD_1 src1_sel:DWORD
	v_fma_f16 v2, v20, v15, v2
	v_fma_f16 v1, v20, v1, -v3
	v_pack_b32_f16 v1, v2, v1
	v_lshrrev_b32_e32 v2, 16, v24
	v_mul_f16_sdwa v3, v21, v2 dst_sel:DWORD dst_unused:UNUSED_PAD src0_sel:WORD_1 src1_sel:DWORD
	v_mul_f16_sdwa v4, v21, v24 dst_sel:DWORD dst_unused:UNUSED_PAD src0_sel:WORD_1 src1_sel:DWORD
	v_fma_f16 v3, v21, v24, v3
	v_fma_f16 v2, v21, v2, -v4
	;; [unrolled: 13-line block ×4, first 2 shown]
	v_pack_b32_f16 v2, v3, v2
	ds_write2st64_b32 v16, v1, v2 offset0:11 offset1:12
	s_waitcnt vmcnt(4)
	v_lshrrev_b32_e32 v1, 16, v38
	v_mul_f16_sdwa v2, v7, v1 dst_sel:DWORD dst_unused:UNUSED_PAD src0_sel:WORD_1 src1_sel:DWORD
	v_mul_f16_sdwa v3, v7, v38 dst_sel:DWORD dst_unused:UNUSED_PAD src0_sel:WORD_1 src1_sel:DWORD
	v_fma_f16 v2, v7, v38, v2
	v_fma_f16 v1, v7, v1, -v3
	v_pack_b32_f16 v1, v2, v1
	s_waitcnt vmcnt(3)
	v_lshrrev_b32_e32 v2, 16, v40
	v_mul_f16_sdwa v3, v37, v2 dst_sel:DWORD dst_unused:UNUSED_PAD src0_sel:WORD_1 src1_sel:DWORD
	v_mul_f16_sdwa v4, v37, v40 dst_sel:DWORD dst_unused:UNUSED_PAD src0_sel:WORD_1 src1_sel:DWORD
	v_fma_f16 v3, v37, v40, v3
	v_fma_f16 v2, v37, v2, -v4
	v_pack_b32_f16 v2, v3, v2
	ds_write2st64_b32 v16, v1, v2 offset0:13 offset1:14
	s_waitcnt vmcnt(2)
	v_lshrrev_b32_e32 v1, 16, v6
	s_waitcnt vmcnt(1)
	v_mul_f16_sdwa v2, v39, v1 dst_sel:DWORD dst_unused:UNUSED_PAD src0_sel:WORD_1 src1_sel:DWORD
	v_mul_f16_sdwa v3, v39, v6 dst_sel:DWORD dst_unused:UNUSED_PAD src0_sel:WORD_1 src1_sel:DWORD
	v_fma_f16 v2, v39, v6, v2
	v_fma_f16 v1, v39, v1, -v3
	v_pack_b32_f16 v1, v2, v1
	s_waitcnt vmcnt(0)
	v_lshrrev_b32_e32 v2, 16, v0
	v_mul_f16_sdwa v3, v36, v2 dst_sel:DWORD dst_unused:UNUSED_PAD src0_sel:WORD_1 src1_sel:DWORD
	v_fma_f16 v3, v36, v0, v3
	v_mul_f16_sdwa v0, v36, v0 dst_sel:DWORD dst_unused:UNUSED_PAD src0_sel:WORD_1 src1_sel:DWORD
	v_fma_f16 v0, v36, v2, -v0
	v_pack_b32_f16 v0, v3, v0
	ds_write2st64_b32 v16, v1, v0 offset0:15 offset1:16
.LBB0_3:
	s_or_b64 exec, exec, s[8:9]
	s_load_dwordx2 s[6:7], s[0:1], 0x20
	s_load_dwordx2 s[4:5], s[0:1], 0x8
	v_mov_b32_e32 v40, 0
	v_lshlrev_b32_e32 v31, 2, v27
	s_waitcnt lgkmcnt(0)
	s_barrier
	s_waitcnt lgkmcnt(0)
                                        ; implicit-def: $vgpr15
                                        ; implicit-def: $vgpr26
                                        ; implicit-def: $vgpr34
                                        ; implicit-def: $vgpr13
                                        ; implicit-def: $vgpr36
                                        ; implicit-def: $vgpr38
                                        ; implicit-def: $vgpr11
                                        ; implicit-def: $vgpr32
                                        ; implicit-def: $vgpr35
                                        ; implicit-def: $vgpr9
                                        ; implicit-def: $vgpr37
                                        ; implicit-def: $vgpr39
                                        ; implicit-def: $vgpr7
                                        ; implicit-def: $vgpr18
                                        ; implicit-def: $vgpr16
                                        ; implicit-def: $vgpr5
                                        ; implicit-def: $vgpr17
                                        ; implicit-def: $vgpr20
                                        ; implicit-def: $vgpr3
                                        ; implicit-def: $vgpr21
                                        ; implicit-def: $vgpr22
                                        ; implicit-def: $vgpr1
                                        ; implicit-def: $vgpr24
                                        ; implicit-def: $vgpr25
	s_and_saveexec_b64 s[0:1], vcc
	s_cbranch_execz .LBB0_5
; %bb.4:
	v_lshl_add_u32 v14, v28, 2, v31
	ds_read2st64_b32 v[0:1], v14 offset0:1 offset1:2
	ds_read2st64_b32 v[2:3], v14 offset0:3 offset1:4
	ds_read2st64_b32 v[4:5], v14 offset0:5 offset1:6
	ds_read2st64_b32 v[6:7], v14 offset0:7 offset1:8
	ds_read2st64_b32 v[8:9], v14 offset0:9 offset1:10
	ds_read2st64_b32 v[10:11], v14 offset0:11 offset1:12
	ds_read2st64_b32 v[12:13], v14 offset0:13 offset1:14
	ds_read2st64_b32 v[14:15], v14 offset0:15 offset1:16
	ds_read_b32 v40, v29
	s_waitcnt lgkmcnt(8)
	v_lshrrev_b32_e32 v25, 16, v0
	v_lshrrev_b32_e32 v24, 16, v1
	s_waitcnt lgkmcnt(7)
	v_lshrrev_b32_e32 v22, 16, v2
	v_lshrrev_b32_e32 v21, 16, v3
	;; [unrolled: 3-line block ×8, first 2 shown]
.LBB0_5:
	s_or_b64 exec, exec, s[0:1]
	v_sub_f16_e32 v61, v0, v15
	v_add_f16_e32 v46, v26, v25
	v_sub_f16_e32 v104, v25, v26
	s_movk_i32 s8, 0x3b76
	v_mul_f16_e32 v49, 0xb5c8, v61
	v_add_f16_e32 v43, v15, v0
	v_mul_f16_e32 v41, 0xb5c8, v104
	v_fma_f16 v42, v46, s8, -v49
	v_sub_f16_e32 v105, v24, v34
	v_fma_f16 v33, v43, s8, v41
	s_waitcnt lgkmcnt(0)
	v_add_f16_sdwa v44, v42, v40 dst_sel:DWORD dst_unused:UNUSED_PAD src0_sel:DWORD src1_sel:WORD_1
	v_add_f16_e32 v45, v14, v1
	v_sub_f16_e32 v65, v1, v14
	s_movk_i32 s9, 0x39e9
	v_mul_f16_e32 v42, 0xb964, v105
	v_add_f16_e32 v33, v33, v40
	v_add_f16_e32 v51, v34, v24
	v_mul_f16_e32 v53, 0xb964, v65
	v_fma_f16 v47, v45, s9, v42
	v_add_f16_e32 v33, v47, v33
	v_fma_f16 v47, v51, s9, -v53
	v_sub_f16_e32 v106, v22, v36
	v_add_f16_e32 v47, v47, v44
	v_add_f16_e32 v50, v13, v2
	v_sub_f16_e32 v68, v2, v13
	s_movk_i32 s10, 0x3722
	v_mul_f16_e32 v44, 0xbb29, v106
	v_add_f16_e32 v54, v36, v22
	v_mul_f16_e32 v56, 0xbb29, v68
	v_fma_f16 v48, v50, s10, v44
	v_add_f16_e32 v33, v48, v33
	v_fma_f16 v48, v54, s10, -v56
	v_sub_f16_e32 v107, v21, v38
	v_add_f16_e32 v48, v48, v47
	v_add_f16_e32 v55, v12, v3
	v_sub_f16_e32 v70, v3, v12
	s_movk_i32 s11, 0x2de8
	v_mul_f16_e32 v47, 0xbbf7, v107
	v_add_f16_e32 v57, v38, v21
	v_mul_f16_e32 v60, 0xbbf7, v70
	v_fma_f16 v52, v55, s11, v47
	v_add_f16_e32 v33, v52, v33
	v_fma_f16 v52, v57, s11, -v60
	v_sub_f16_e32 v108, v20, v32
	v_add_f16_e32 v48, v52, v48
	v_add_f16_e32 v59, v11, v4
	s_mov_b32 s14, 0xb461
	v_mul_f16_e32 v52, 0xbbb2, v108
	v_sub_f16_e32 v78, v4, v11
	v_fma_f16 v58, v59, s14, v52
	v_add_f16_e32 v63, v32, v20
	v_mul_f16_e32 v62, 0xbbb2, v78
	v_add_f16_e32 v33, v58, v33
	v_fma_f16 v58, v63, s14, -v62
	v_sub_f16_e32 v109, v17, v35
	v_add_f16_e32 v48, v58, v48
	s_mov_b32 s15, 0xb8d2
	v_add_f16_e32 v66, v10, v5
	v_mul_f16_e32 v58, 0xba62, v109
	v_sub_f16_e32 v80, v5, v10
	v_fma_f16 v64, v66, s15, v58
	v_add_f16_e32 v69, v35, v17
	v_mul_f16_e32 v67, 0xba62, v80
	v_add_f16_e32 v33, v64, v33
	v_fma_f16 v64, v69, s15, -v67
	v_sub_f16_e32 v110, v16, v37
	v_add_f16_e32 v48, v64, v48
	s_mov_b32 s16, 0xbacd
	v_add_f16_e32 v71, v9, v6
	v_mul_f16_e32 v64, 0xb836, v110
	v_fma_f16 v72, v71, s16, v64
	v_sub_f16_e32 v82, v6, v9
	v_add_f16_e32 v33, v72, v33
	v_add_f16_e32 v73, v37, v16
	v_mul_f16_e32 v72, 0xb836, v82
	v_sub_f16_e32 v83, v7, v8
	v_fma_f16 v74, v73, s16, -v72
	s_mov_b32 s17, 0xbbdd
	v_add_f16_e32 v77, v39, v18
	v_mul_f16_e32 v76, 0xb1e1, v83
	v_sub_f16_e32 v111, v18, v39
	v_add_f16_e32 v48, v74, v48
	v_fma_f16 v74, v77, s17, -v76
	v_add_f16_e32 v79, v8, v7
	v_mul_f16_e32 v75, 0xb1e1, v111
	v_add_f16_e32 v48, v74, v48
	v_fma_f16 v74, v79, s17, v75
	s_mov_b32 s22, 0xb5c8
	s_mov_b32 s20, 0xb964
	;; [unrolled: 1-line block ×8, first 2 shown]
	v_add_f16_e32 v33, v74, v33
	s_barrier
	s_and_saveexec_b64 s[0:1], vcc
	s_cbranch_execz .LBB0_7
; %bb.6:
	v_mul_f16_e32 v87, 0x39e9, v46
	s_movk_i32 s25, 0x3964
	v_fma_f16 v74, v61, s25, v87
	v_mul_f16_e32 v88, 0x2de8, v51
	s_movk_i32 s33, 0x3bf7
	v_add_f16_sdwa v74, v74, v40 dst_sel:DWORD dst_unused:UNUSED_PAD src0_sel:DWORD src1_sel:WORD_1
	v_fma_f16 v81, v65, s33, v88
	v_mul_f16_e32 v89, 0xb8d2, v54
	s_movk_i32 s29, 0x3a62
	v_add_f16_e32 v74, v81, v74
	v_fma_f16 v81, v68, s29, v89
	v_mul_f16_e32 v90, 0xbbdd, v57
	s_movk_i32 s26, 0x31e1
	v_add_f16_e32 v74, v81, v74
	v_fma_f16 v81, v70, s26, v90
	v_mul_f16_e32 v91, 0xbacd, v63
	v_add_f16_e32 v74, v81, v74
	v_fma_f16 v81, v78, s23, v91
	v_mul_f16_e32 v92, 0xb461, v69
	;; [unrolled: 3-line block ×12, first 2 shown]
	v_add_f16_e32 v81, v84, v81
	v_fma_f16 v84, v79, s8, v103
	s_movk_i32 s27, 0x3b29
	v_mul_f16_e32 v112, 0x3722, v46
	v_add_f16_e32 v81, v84, v81
	v_fma_f16 v84, v61, s27, v112
	v_mul_f16_e32 v113, 0xb8d2, v51
	v_add_f16_sdwa v84, v84, v40 dst_sel:DWORD dst_unused:UNUSED_PAD src0_sel:DWORD src1_sel:WORD_1
	v_fma_f16 v85, v65, s29, v113
	v_mul_f16_e32 v114, 0xbbdd, v54
	v_add_f16_e32 v84, v85, v84
	v_fma_f16 v85, v68, s19, v114
	v_mul_f16_e32 v115, 0xb461, v57
	v_add_f16_e32 v84, v85, v84
	;; [unrolled: 3-line block ×3, first 2 shown]
	v_fma_f16 v85, v78, s20, v116
	s_movk_i32 s28, 0x35c8
	v_mul_f16_e32 v117, 0x3b76, v69
	v_add_f16_e32 v84, v85, v84
	v_fma_f16 v85, v80, s28, v117
	v_mul_f16_e32 v118, 0x2de8, v73
	v_add_f16_e32 v84, v85, v84
	v_fma_f16 v85, v82, s33, v118
	s_movk_i32 s31, 0x3836
	v_mul_f16_e32 v119, 0xbacd, v77
	v_add_f16_e32 v84, v85, v84
	v_fma_f16 v85, v83, s31, v119
	v_mul_f16_e32 v120, 0xbb29, v104
	v_add_f16_e32 v84, v85, v84
	v_fma_f16 v85, v43, s10, v120
	;; [unrolled: 3-line block ×10, first 2 shown]
	v_mul_f16_e32 v129, 0xbbdd, v51
	v_add_f16_sdwa v86, v86, v40 dst_sel:DWORD dst_unused:UNUSED_PAD src0_sel:DWORD src1_sel:WORD_1
	v_fma_f16 v102, v65, s26, v129
	v_mul_f16_e32 v130, 0xb461, v54
	v_add_f16_e32 v86, v102, v86
	v_fma_f16 v102, v68, s30, v130
	v_mul_f16_e32 v131, 0x3b76, v57
	v_add_f16_e32 v86, v102, v86
	v_fma_f16 v102, v70, s22, v131
	v_mul_f16_e32 v132, 0x3722, v63
	v_add_f16_e32 v86, v102, v86
	v_fma_f16 v102, v78, s27, v132
	v_mul_f16_e32 v133, 0xbacd, v69
	v_add_f16_e32 v86, v102, v86
	v_fma_f16 v102, v80, s31, v133
	v_mul_f16_e32 v134, 0xb8d2, v73
	v_add_f16_e32 v86, v102, v86
	v_fma_f16 v102, v82, s18, v134
	v_mul_f16_e32 v135, 0x39e9, v77
	v_add_f16_e32 v86, v102, v86
	v_fma_f16 v102, v83, s20, v135
	v_mul_f16_e32 v136, 0xbbf7, v104
	v_add_f16_e32 v86, v102, v86
	v_fma_f16 v102, v43, s11, v136
	v_mul_f16_e32 v137, 0xb1e1, v105
	v_add_f16_e32 v102, v102, v40
	v_fma_f16 v138, v45, s17, v137
	v_add_f16_e32 v102, v138, v102
	v_mul_f16_e32 v138, 0x3bb2, v106
	v_fma_f16 v139, v50, s14, v138
	v_add_f16_e32 v102, v139, v102
	v_mul_f16_e32 v139, 0x35c8, v107
	;; [unrolled: 3-line block ×6, first 2 shown]
	v_fma_f16 v144, v79, s9, v143
	v_add_f16_e32 v102, v144, v102
	s_movk_i32 s34, 0x3bb2
	v_mul_f16_e32 v144, 0xb461, v46
	v_fma_f16 v145, v61, s34, v144
	v_mul_f16_e32 v146, 0xbacd, v51
	v_add_f16_sdwa v145, v145, v40 dst_sel:DWORD dst_unused:UNUSED_PAD src0_sel:DWORD src1_sel:WORD_1
	v_fma_f16 v147, v65, s23, v146
	v_add_f16_e32 v145, v147, v145
	v_mul_f16_e32 v147, 0x39e9, v54
	v_fma_f16 v148, v68, s20, v147
	v_add_f16_e32 v145, v148, v145
	v_mul_f16_e32 v148, 0x3722, v57
	v_fma_f16 v149, v70, s27, v148
	v_add_f16_e32 v145, v149, v145
	v_mul_f16_e32 v149, 0xbbdd, v63
	v_fma_f16 v150, v78, s26, v149
	v_add_f16_e32 v145, v150, v145
	v_mul_f16_e32 v150, 0x2de8, v69
	v_fma_f16 v151, v80, s21, v150
	v_add_f16_e32 v145, v151, v145
	v_mul_f16_e32 v151, 0x3b76, v73
	v_fma_f16 v152, v82, s28, v151
	v_add_f16_e32 v145, v152, v145
	v_mul_f16_e32 v152, 0xb8d2, v77
	v_fma_f16 v153, v83, s29, v152
	v_add_f16_e32 v145, v153, v145
	v_mul_f16_e32 v153, 0xbbb2, v104
	v_fma_f16 v154, v43, s14, v153
	v_mul_f16_e32 v155, 0x3836, v105
	v_add_f16_e32 v154, v154, v40
	v_fma_f16 v156, v45, s16, v155
	v_add_f16_e32 v154, v156, v154
	v_mul_f16_e32 v156, 0x3964, v106
	v_fma_f16 v157, v50, s9, v156
	v_add_f16_e32 v154, v157, v154
	v_mul_f16_e32 v157, 0xbb29, v107
	v_fma_f16 v158, v55, s10, v157
	v_add_f16_e32 v154, v158, v154
	v_mul_f16_e32 v158, 0xb1e1, v108
	v_fma_f16 v159, v59, s17, v158
	v_add_f16_e32 v154, v159, v154
	v_mul_f16_e32 v159, 0x3bf7, v109
	v_fma_f16 v160, v66, s11, v159
	v_add_f16_e32 v154, v160, v154
	v_mul_f16_e32 v160, 0xb5c8, v110
	v_fma_f16 v161, v71, s8, v160
	v_add_f16_e32 v154, v161, v154
	v_mul_f16_e32 v161, 0xba62, v111
	v_fma_f16 v162, v79, s15, v161
	v_add_f16_e32 v154, v162, v154
	v_mul_f16_e32 v162, 0xb8d2, v46
	v_fma_f16 v163, v61, s29, v162
	v_mul_f16_e32 v164, 0xb461, v51
	v_add_f16_sdwa v163, v163, v40 dst_sel:DWORD dst_unused:UNUSED_PAD src0_sel:DWORD src1_sel:WORD_1
	v_fma_f16 v165, v65, s30, v164
	v_add_f16_e32 v163, v165, v163
	v_mul_f16_e32 v165, 0x3b76, v54
	v_fma_f16 v166, v68, s28, v165
	v_add_f16_e32 v163, v166, v163
	v_mul_f16_e32 v166, 0xbacd, v57
	v_fma_f16 v167, v70, s31, v166
	v_add_f16_e32 v163, v167, v163
	v_mul_f16_e32 v167, 0x2de8, v63
	v_fma_f16 v168, v78, s21, v167
	v_add_f16_e32 v163, v168, v163
	v_mul_f16_e32 v168, 0x39e9, v69
	v_fma_f16 v169, v80, s25, v168
	v_add_f16_e32 v163, v169, v163
	v_mul_f16_e32 v169, 0xbbdd, v73
	v_fma_f16 v170, v82, s26, v169
	v_add_f16_e32 v163, v170, v163
	v_mul_f16_e32 v170, 0x3722, v77
	v_fma_f16 v171, v83, s24, v170
	v_add_f16_e32 v163, v171, v163
	v_mul_f16_e32 v171, 0xba62, v104
	v_fma_f16 v172, v43, s15, v171
	v_mul_f16_e32 v173, 0x3bb2, v105
	v_add_f16_e32 v172, v172, v40
	v_fma_f16 v174, v45, s14, v173
	v_add_f16_e32 v172, v174, v172
	v_mul_f16_e32 v174, 0xb5c8, v106
	v_fma_f16 v175, v50, s8, v174
	v_add_f16_e32 v172, v175, v172
	v_mul_f16_e32 v175, 0xb836, v107
	v_fma_f16 v176, v55, s16, v175
	v_add_f16_e32 v172, v176, v172
	v_mul_f16_e32 v176, 0x3bf7, v108
	v_fma_f16 v177, v59, s11, v176
	v_add_f16_e32 v172, v177, v172
	v_mul_f16_e32 v177, 0xb964, v109
	v_fma_f16 v178, v66, s9, v177
	v_add_f16_e32 v172, v178, v172
	v_mul_f16_e32 v178, 0xb1e1, v110
	v_fma_f16 v179, v71, s17, v178
	v_add_f16_e32 v172, v179, v172
	v_mul_f16_e32 v179, 0x3b29, v111
	v_fma_f16 v180, v79, s10, v179
	v_add_f16_e32 v172, v180, v172
	;; [unrolled: 48-line block ×3, first 2 shown]
	v_mul_f16_e32 v198, 0xbbdd, v46
	v_fma_f16 v199, v61, s26, v198
	v_mul_f16_e32 v200, 0x3b76, v51
	v_add_f16_sdwa v199, v199, v40 dst_sel:DWORD dst_unused:UNUSED_PAD src0_sel:DWORD src1_sel:WORD_1
	v_fma_f16 v201, v65, s22, v200
	v_add_f16_e32 v199, v201, v199
	v_mul_f16_e32 v201, 0xbacd, v54
	v_fma_f16 v202, v68, s31, v201
	v_add_f16_e32 v199, v202, v199
	v_mul_f16_e32 v202, 0x39e9, v57
	;; [unrolled: 3-line block ×6, first 2 shown]
	v_fma_f16 v207, v83, s21, v206
	v_mul_f16_e32 v104, 0xb1e1, v104
	v_add_f16_e32 v199, v207, v199
	v_fma_f16 v207, v43, s17, v104
	v_mul_f16_e32 v105, 0x35c8, v105
	v_fma_f16 v104, v43, s17, -v104
	v_fma_f16 v208, v45, s8, v105
	v_mul_f16_e32 v106, 0xb836, v106
	v_add_f16_e32 v104, v104, v40
	v_fma_f16 v105, v45, s8, -v105
	v_mul_f16_e32 v107, 0x3964, v107
	v_add_f16_e32 v104, v105, v104
	v_fma_f16 v105, v50, s16, -v106
	;; [unrolled: 3-line block ×6, first 2 shown]
	v_add_f16_e32 v104, v105, v104
	v_fma_f16 v105, v79, s11, -v111
	v_add_f16_e32 v207, v207, v40
	v_add_f16_e32 v104, v105, v104
	v_fma_f16 v105, v61, s23, v180
	v_add_f16_e32 v207, v208, v207
	v_fma_f16 v208, v50, s16, v106
	v_add_f16_sdwa v105, v105, v40 dst_sel:DWORD dst_unused:UNUSED_PAD src0_sel:DWORD src1_sel:WORD_1
	v_fma_f16 v106, v65, s27, v182
	v_add_f16_e32 v105, v106, v105
	v_fma_f16 v106, v68, s21, v183
	v_add_f16_e32 v105, v106, v105
	v_fma_f16 v106, v70, s29, v184
	v_add_f16_e32 v105, v106, v105
	v_fma_f16 v106, v78, s22, v185
	v_add_f16_e32 v105, v106, v105
	v_fma_f16 v106, v80, s19, v186
	v_add_f16_e32 v105, v106, v105
	v_fma_f16 v106, v82, s25, v187
	v_add_f16_e32 v105, v106, v105
	v_fma_f16 v106, v83, s30, v188
	v_add_f16_e32 v105, v106, v105
	v_fma_f16 v106, v43, s16, -v189
	v_add_f16_e32 v207, v208, v207
	v_fma_f16 v208, v55, s9, v107
	v_add_f16_e32 v106, v106, v40
	v_fma_f16 v107, v45, s10, -v191
	v_add_f16_e32 v106, v107, v106
	v_fma_f16 v107, v50, s11, -v192
	v_add_f16_e32 v106, v107, v106
	v_fma_f16 v107, v55, s15, -v193
	v_add_f16_e32 v106, v107, v106
	v_fma_f16 v107, v59, s8, -v194
	v_add_f16_e32 v106, v107, v106
	v_fma_f16 v107, v66, s17, -v195
	v_add_f16_e32 v106, v107, v106
	v_fma_f16 v107, v71, s9, -v196
	v_add_f16_e32 v106, v107, v106
	v_fma_f16 v107, v79, s14, -v197
	v_add_f16_e32 v106, v107, v106
	v_fma_f16 v107, v61, s18, v162
	v_add_f16_e32 v207, v208, v207
	v_fma_f16 v208, v59, s15, v108
	v_add_f16_sdwa v107, v107, v40 dst_sel:DWORD dst_unused:UNUSED_PAD src0_sel:DWORD src1_sel:WORD_1
	v_fma_f16 v108, v65, s34, v164
	v_add_f16_e32 v107, v108, v107
	v_fma_f16 v108, v68, s22, v165
	v_add_f16_e32 v107, v108, v107
	v_fma_f16 v108, v70, s23, v166
	v_add_f16_e32 v107, v108, v107
	v_fma_f16 v108, v78, s33, v167
	v_add_f16_e32 v107, v108, v107
	v_fma_f16 v108, v80, s20, v168
	v_add_f16_e32 v107, v108, v107
	v_fma_f16 v108, v82, s19, v169
	v_add_f16_e32 v107, v108, v107
	v_fma_f16 v108, v83, s27, v170
	v_add_f16_e32 v107, v108, v107
	v_fma_f16 v108, v43, s15, -v171
	v_add_f16_e32 v207, v208, v207
	v_fma_f16 v208, v66, s10, v109
	v_add_f16_e32 v108, v108, v40
	v_fma_f16 v109, v45, s14, -v173
	v_add_f16_e32 v108, v109, v108
	v_fma_f16 v109, v50, s8, -v174
	v_add_f16_e32 v108, v109, v108
	v_fma_f16 v109, v55, s16, -v175
	v_add_f16_e32 v108, v109, v108
	v_fma_f16 v109, v59, s11, -v176
	v_add_f16_e32 v108, v109, v108
	v_fma_f16 v109, v66, s9, -v177
	v_add_f16_e32 v108, v109, v108
	v_fma_f16 v109, v71, s17, -v178
	v_add_f16_e32 v108, v109, v108
	v_fma_f16 v109, v79, s10, -v179
	;; [unrolled: 36-line block ×3, first 2 shown]
	v_fma_f16 v198, v61, s19, v198
	v_add_f16_e32 v110, v111, v110
	v_fma_f16 v111, v61, s21, v128
	v_fma_f16 v112, v61, s24, v112
	;; [unrolled: 1-line block ×4, first 2 shown]
	v_add_f16_sdwa v111, v111, v40 dst_sel:DWORD dst_unused:UNUSED_PAD src0_sel:DWORD src1_sel:WORD_1
	v_fma_f16 v128, v65, s19, v129
	v_add_f16_sdwa v112, v112, v40 dst_sel:DWORD dst_unused:UNUSED_PAD src0_sel:DWORD src1_sel:WORD_1
	v_fma_f16 v113, v65, s18, v113
	v_fma_f16 v65, v65, s21, v88
	v_add_f16_sdwa v61, v61, v40 dst_sel:DWORD dst_unused:UNUSED_PAD src0_sel:DWORD src1_sel:WORD_1
	v_add_f16_e32 v0, v0, v40
	v_add_f16_e32 v111, v128, v111
	v_fma_f16 v128, v68, s34, v130
	v_add_f16_e32 v112, v113, v112
	v_fma_f16 v113, v68, s26, v114
	;; [unrolled: 2-line block ×3, first 2 shown]
	v_add_f16_e32 v0, v1, v0
	v_add_f16_sdwa v1, v25, v40 dst_sel:DWORD dst_unused:UNUSED_PAD src0_sel:DWORD src1_sel:WORD_1
	v_add_f16_e32 v111, v128, v111
	v_fma_f16 v128, v70, s28, v131
	v_add_f16_e32 v112, v113, v112
	v_fma_f16 v113, v70, s34, v115
	;; [unrolled: 2-line block ×3, first 2 shown]
	v_mul_f16_e32 v46, 0x3b76, v46
	v_add_f16_e32 v1, v24, v1
	v_add_f16_e32 v111, v128, v111
	v_fma_f16 v128, v78, s24, v132
	v_add_f16_e32 v112, v113, v112
	v_fma_f16 v113, v78, s25, v116
	;; [unrolled: 2-line block ×3, first 2 shown]
	v_add_f16_e32 v46, v49, v46
	v_mul_f16_e32 v49, 0x39e9, v51
	v_add_f16_e32 v0, v2, v0
	v_add_f16_e32 v1, v22, v1
	;; [unrolled: 1-line block ×3, first 2 shown]
	v_fma_f16 v128, v80, s23, v133
	v_add_f16_e32 v112, v113, v112
	v_fma_f16 v113, v80, s22, v117
	v_add_f16_e32 v61, v65, v61
	;; [unrolled: 2-line block ×3, first 2 shown]
	v_add_f16_sdwa v46, v46, v40 dst_sel:DWORD dst_unused:UNUSED_PAD src0_sel:DWORD src1_sel:WORD_1
	v_add_f16_e32 v0, v3, v0
	v_add_f16_e32 v1, v21, v1
	;; [unrolled: 1-line block ×3, first 2 shown]
	v_fma_f16 v128, v82, s29, v134
	v_add_f16_e32 v112, v113, v112
	v_fma_f16 v113, v82, s21, v118
	v_add_f16_e32 v61, v65, v61
	;; [unrolled: 2-line block ×3, first 2 shown]
	v_mul_f16_e32 v49, 0x3722, v54
	v_add_f16_e32 v0, v4, v0
	v_add_f16_e32 v1, v20, v1
	;; [unrolled: 1-line block ×3, first 2 shown]
	v_fma_f16 v128, v83, s25, v135
	v_add_f16_e32 v112, v113, v112
	v_fma_f16 v113, v83, s23, v119
	v_add_f16_e32 v61, v65, v61
	;; [unrolled: 2-line block ×3, first 2 shown]
	v_add_f16_e32 v0, v5, v0
	v_add_f16_e32 v1, v17, v1
	v_add_f16_sdwa v198, v198, v40 dst_sel:DWORD dst_unused:UNUSED_PAD src0_sel:DWORD src1_sel:WORD_1
	v_add_f16_e32 v111, v128, v111
	v_fma_f16 v128, v43, s11, -v136
	v_add_f16_e32 v112, v113, v112
	v_fma_f16 v113, v43, s10, -v120
	;; [unrolled: 2-line block ×3, first 2 shown]
	v_add_f16_e32 v46, v49, v46
	v_mul_f16_e32 v49, 0x2de8, v57
	v_mul_f16_e32 v43, 0x3b76, v43
	v_add_f16_e32 v0, v6, v0
	v_add_f16_e32 v1, v16, v1
	;; [unrolled: 1-line block ×3, first 2 shown]
	v_fma_f16 v200, v68, s23, v201
	v_fma_f16 v129, v45, s17, -v137
	v_fma_f16 v114, v45, s15, -v121
	;; [unrolled: 1-line block ×3, first 2 shown]
	v_add_f16_e32 v49, v60, v49
	v_mul_f16_e32 v45, 0x39e9, v45
	v_sub_f16_e32 v41, v43, v41
	v_add_f16_e32 v0, v7, v0
	v_add_f16_e32 v1, v18, v1
	;; [unrolled: 1-line block ×6, first 2 shown]
	v_mul_f16_e32 v49, 0x3722, v50
	v_add_f16_e32 v41, v41, v40
	v_sub_f16_e32 v42, v45, v42
	v_add_f16_e32 v0, v8, v0
	v_add_f16_e32 v1, v39, v1
	;; [unrolled: 1-line block ×3, first 2 shown]
	v_fma_f16 v129, v50, s14, -v138
	v_add_f16_e32 v113, v114, v113
	v_fma_f16 v114, v50, s17, -v122
	v_add_f16_e32 v65, v68, v65
	v_fma_f16 v68, v50, s15, -v97
	v_mul_f16_e32 v50, 0x2de8, v55
	v_add_f16_e32 v41, v42, v41
	v_sub_f16_e32 v42, v49, v44
	v_add_f16_e32 v0, v9, v0
	v_add_f16_e32 v1, v37, v1
	v_mul_f16_e32 v51, 0xb461, v59
	v_mul_f16_e32 v53, 0xb461, v63
	v_add_f16_e32 v41, v42, v41
	v_sub_f16_e32 v42, v50, v47
	v_add_f16_e32 v0, v10, v0
	v_add_f16_e32 v1, v35, v1
	;; [unrolled: 1-line block ×3, first 2 shown]
	v_fma_f16 v129, v55, s8, -v139
	v_add_f16_e32 v113, v114, v113
	v_fma_f16 v114, v55, s14, -v123
	v_add_f16_e32 v65, v68, v65
	v_fma_f16 v68, v55, s17, -v98
	v_mul_f16_e32 v54, 0xb8d2, v66
	v_mul_f16_e32 v55, 0xb8d2, v69
	v_add_f16_e32 v53, v62, v53
	v_add_f16_e32 v41, v42, v41
	v_sub_f16_e32 v42, v51, v52
	v_add_f16_e32 v0, v11, v0
	v_add_f16_e32 v1, v32, v1
	;; [unrolled: 1-line block ×3, first 2 shown]
	v_fma_f16 v114, v59, s9, -v124
	v_add_f16_e32 v65, v68, v65
	v_fma_f16 v68, v59, s16, -v99
	v_mul_f16_e32 v56, 0xbacd, v71
	v_mul_f16_e32 v57, 0xbacd, v73
	v_add_f16_e32 v46, v53, v46
	v_add_f16_e32 v53, v67, v55
	;; [unrolled: 1-line block ×3, first 2 shown]
	v_sub_f16_e32 v42, v54, v58
	v_add_f16_e32 v0, v12, v0
	v_add_f16_e32 v1, v38, v1
	;; [unrolled: 1-line block ×3, first 2 shown]
	v_fma_f16 v129, v59, s10, -v140
	v_add_f16_e32 v113, v114, v113
	v_fma_f16 v114, v66, s8, -v125
	v_add_f16_e32 v65, v68, v65
	v_fma_f16 v68, v66, s14, -v100
	v_mul_f16_e32 v59, 0xbbdd, v79
	v_mul_f16_e32 v60, 0xbbdd, v77
	v_add_f16_e32 v46, v53, v46
	v_add_f16_e32 v53, v72, v57
	;; [unrolled: 1-line block ×3, first 2 shown]
	v_sub_f16_e32 v42, v56, v64
	v_add_f16_e32 v0, v13, v0
	v_add_f16_e32 v1, v36, v1
	;; [unrolled: 1-line block ×3, first 2 shown]
	v_fma_f16 v200, v70, s25, v202
	v_add_f16_e32 v128, v129, v128
	v_fma_f16 v129, v66, s16, -v141
	v_add_f16_e32 v113, v114, v113
	v_fma_f16 v114, v71, s11, -v126
	;; [unrolled: 2-line block ×3, first 2 shown]
	v_add_f16_e32 v46, v53, v46
	v_add_f16_e32 v53, v76, v60
	;; [unrolled: 1-line block ×3, first 2 shown]
	v_sub_f16_e32 v42, v59, v75
	v_add_f16_e32 v0, v14, v0
	v_add_f16_e32 v1, v34, v1
	;; [unrolled: 1-line block ×3, first 2 shown]
	v_fma_f16 v200, v78, s18, v203
	v_add_f16_e32 v128, v129, v128
	v_fma_f16 v129, v71, s15, -v142
	v_add_f16_e32 v113, v114, v113
	v_fma_f16 v114, v79, s16, -v127
	;; [unrolled: 2-line block ×3, first 2 shown]
	v_add_f16_e32 v46, v53, v46
	v_add_f16_e32 v41, v42, v41
	;; [unrolled: 1-line block ×4, first 2 shown]
	v_mul_lo_u16_e32 v2, 17, v28
	v_add_f16_e32 v198, v200, v198
	v_fma_f16 v200, v80, s27, v204
	v_add_f16_e32 v128, v129, v128
	v_fma_f16 v129, v79, s9, -v143
	v_add_f16_e32 v113, v114, v113
	v_add_f16_e32 v65, v68, v65
	v_add_lshl_u32 v2, v27, v2, 2
	v_pack_b32_f16 v3, v41, v46
	v_pack_b32_f16 v0, v0, v1
	v_add_f16_e32 v198, v200, v198
	v_fma_f16 v200, v82, s30, v205
	v_add_f16_e32 v128, v129, v128
	ds_write2_b32 v2, v0, v3 offset1:1
	v_pack_b32_f16 v0, v113, v112
	v_pack_b32_f16 v1, v65, v61
	v_add_f16_e32 v198, v200, v198
	v_fma_f16 v200, v83, s33, v206
	ds_write2_b32 v2, v1, v0 offset0:2 offset1:3
	v_pack_b32_f16 v0, v110, v109
	v_pack_b32_f16 v1, v128, v111
	v_add_f16_e32 v207, v208, v207
	v_add_f16_e32 v198, v200, v198
	ds_write2_b32 v2, v1, v0 offset0:4 offset1:5
	v_pack_b32_f16 v0, v106, v105
	v_pack_b32_f16 v1, v108, v107
	ds_write2_b32 v2, v1, v0 offset0:6 offset1:7
	v_pack_b32_f16 v0, v207, v199
	v_pack_b32_f16 v1, v104, v198
	ds_write2_b32 v2, v1, v0 offset0:8 offset1:9
	v_pack_b32_f16 v0, v172, v163
	v_pack_b32_f16 v1, v190, v181
	ds_write2_b32 v2, v1, v0 offset0:10 offset1:11
	v_pack_b32_f16 v0, v102, v86
	v_pack_b32_f16 v1, v154, v145
	ds_write2_b32 v2, v1, v0 offset0:12 offset1:13
	v_pack_b32_f16 v0, v81, v74
	v_pack_b32_f16 v1, v85, v84
	s_mov_b32 s8, 0x5040100
	ds_write2_b32 v2, v1, v0 offset0:14 offset1:15
	v_perm_b32 v0, v48, v33, s8
	ds_write_b32 v2, v0 offset:64
.LBB0_7:
	s_or_b64 exec, exec, s[0:1]
	s_load_dwordx4 s[8:11], s[6:7], 0x0
	s_movk_i32 s6, 0xf1
	v_add_u16_e32 v2, 0x44, v28
	v_mul_lo_u16_sdwa v3, v2, s6 dst_sel:DWORD dst_unused:UNUSED_PAD src0_sel:BYTE_0 src1_sel:DWORD
	v_add_u16_e32 v22, 0x88, v28
	v_mul_lo_u16_sdwa v0, v28, s6 dst_sel:DWORD dst_unused:UNUSED_PAD src0_sel:BYTE_0 src1_sel:DWORD
	v_lshrrev_b16_e32 v15, 12, v3
	v_mul_lo_u16_sdwa v3, v22, s6 dst_sel:DWORD dst_unused:UNUSED_PAD src0_sel:BYTE_0 src1_sel:DWORD
	v_lshrrev_b16_e32 v7, 12, v0
	v_lshrrev_b16_e32 v26, 12, v3
	v_mul_lo_u16_e32 v0, 17, v7
	v_mul_lo_u16_e32 v3, 17, v26
	v_sub_u16_e32 v0, v28, v0
	v_sub_u16_e32 v3, v22, v3
	v_and_b32_e32 v11, 0xff, v0
	v_and_b32_e32 v49, 0xff, v3
	v_mad_u64_u32 v[0:1], s[0:1], v11, 12, s[4:5]
	v_mad_u64_u32 v[8:9], s[0:1], v49, 12, s[4:5]
	s_waitcnt lgkmcnt(0)
	s_barrier
	global_load_dwordx3 v[4:6], v[0:1], off
	v_add_u32_e32 v51, 0xcc, v28
	global_load_dwordx3 v[8:10], v[8:9], off
	v_mul_lo_u16_e32 v0, 17, v15
	v_sub_u16_e32 v0, v2, v0
	v_and_b32_e32 v18, 0xff, v0
	v_mad_u64_u32 v[0:1], s[0:1], v18, 12, s[4:5]
	global_load_dwordx3 v[0:2], v[0:1], off
	s_mov_b32 s0, 0xf0f1
	v_mul_u32_u24_sdwa v52, v51, s0 dst_sel:DWORD dst_unused:UNUSED_PAD src0_sel:WORD_0 src1_sel:DWORD
	v_lshrrev_b32_e32 v50, 20, v52
	v_mul_lo_u16_e32 v3, 17, v50
	v_sub_u16_e32 v53, v51, v3
	v_mov_b32_e32 v25, 0
	v_mul_lo_u16_e32 v24, 12, v53
	v_lshl_add_u64 v[12:13], s[4:5], 0, v[24:25]
	global_load_dwordx3 v[12:14], v[12:13], off
	v_add_lshl_u32 v3, v27, v28, 2
	ds_read2_b32 v[16:17], v3 offset1:68
	v_add_u32_e32 v32, 0x400, v3
	v_add_u32_e32 v35, 0x800, v3
	v_add_u32_e32 v34, 0xc00, v3
	ds_read2_b32 v[20:21], v3 offset0:136 offset1:204
	ds_read2_b32 v[36:37], v32 offset0:16 offset1:84
	;; [unrolled: 1-line block ×7, first 2 shown]
	s_waitcnt lgkmcnt(5)
	v_lshrrev_b32_e32 v57, 16, v36
	s_waitcnt lgkmcnt(3)
	v_lshrrev_b32_e32 v62, 16, v41
	;; [unrolled: 2-line block ×5, first 2 shown]
	v_lshrrev_b32_e32 v58, 16, v38
	v_lshrrev_b32_e32 v59, 16, v40
	;; [unrolled: 1-line block ×8, first 2 shown]
	v_mul_u32_u24_e32 v7, 0x44, v7
	v_lshrrev_b32_e32 v54, 16, v17
	v_add_u32_e32 v7, v7, v11
	v_add_lshl_u32 v11, v27, v7, 2
	s_barrier
	v_lshrrev_b32_e32 v55, 16, v20
	v_lshrrev_b32_e32 v56, 16, v21
	s_movk_i32 s0, 0x44
	s_waitcnt vmcnt(3)
	v_mul_f16_sdwa v69, v57, v4 dst_sel:DWORD dst_unused:UNUSED_PAD src0_sel:DWORD src1_sel:WORD_1
	v_mul_f16_sdwa v70, v36, v4 dst_sel:DWORD dst_unused:UNUSED_PAD src0_sel:DWORD src1_sel:WORD_1
	v_fma_f16 v36, v36, v4, -v69
	v_mul_f16_sdwa v71, v58, v5 dst_sel:DWORD dst_unused:UNUSED_PAD src0_sel:DWORD src1_sel:WORD_1
	v_mul_f16_sdwa v72, v38, v5 dst_sel:DWORD dst_unused:UNUSED_PAD src0_sel:DWORD src1_sel:WORD_1
	;; [unrolled: 1-line block ×4, first 2 shown]
	v_fma_f16 v57, v57, v4, v70
	s_waitcnt vmcnt(1)
	v_mul_f16_sdwa v69, v62, v2 dst_sel:DWORD dst_unused:UNUSED_PAD src0_sel:DWORD src1_sel:WORD_1
	v_fma_f16 v69, v41, v2, -v69
	v_mul_f16_sdwa v41, v41, v2 dst_sel:DWORD dst_unused:UNUSED_PAD src0_sel:DWORD src1_sel:WORD_1
	v_fma_f16 v41, v62, v2, v41
	v_mul_f16_sdwa v62, v63, v8 dst_sel:DWORD dst_unused:UNUSED_PAD src0_sel:DWORD src1_sel:WORD_1
	v_fma_f16 v62, v42, v8, -v62
	v_mul_f16_sdwa v42, v42, v8 dst_sel:DWORD dst_unused:UNUSED_PAD src0_sel:DWORD src1_sel:WORD_1
	v_fma_f16 v42, v63, v8, v42
	;; [unrolled: 4-line block ×4, first 2 shown]
	s_waitcnt vmcnt(0)
	v_mul_f16_sdwa v65, v66, v12 dst_sel:DWORD dst_unused:UNUSED_PAD src0_sel:DWORD src1_sel:WORD_1
	v_fma_f16 v38, v38, v5, -v71
	v_fma_f16 v58, v58, v5, v72
	v_fma_f16 v40, v40, v6, -v73
	v_fma_f16 v59, v59, v6, v74
	v_fma_f16 v65, v43, v12, -v65
	v_mul_f16_sdwa v43, v43, v12 dst_sel:DWORD dst_unused:UNUSED_PAD src0_sel:DWORD src1_sel:WORD_1
	v_fma_f16 v43, v66, v12, v43
	v_mul_f16_sdwa v66, v67, v13 dst_sel:DWORD dst_unused:UNUSED_PAD src0_sel:DWORD src1_sel:WORD_1
	v_sub_f16_e32 v38, v16, v38
	v_sub_f16_e32 v58, v24, v58
	;; [unrolled: 1-line block ×4, first 2 shown]
	v_fma_f16 v66, v45, v13, -v66
	v_mul_f16_sdwa v45, v45, v13 dst_sel:DWORD dst_unused:UNUSED_PAD src0_sel:DWORD src1_sel:WORD_1
	v_fma_f16 v16, v16, 2.0, -v38
	v_fma_f16 v24, v24, 2.0, -v58
	;; [unrolled: 1-line block ×4, first 2 shown]
	v_mul_f16_sdwa v75, v60, v0 dst_sel:DWORD dst_unused:UNUSED_PAD src0_sel:DWORD src1_sel:WORD_1
	v_mul_f16_sdwa v76, v37, v0 dst_sel:DWORD dst_unused:UNUSED_PAD src0_sel:DWORD src1_sel:WORD_1
	;; [unrolled: 1-line block ×4, first 2 shown]
	v_fma_f16 v45, v67, v13, v45
	v_mul_f16_sdwa v67, v68, v14 dst_sel:DWORD dst_unused:UNUSED_PAD src0_sel:DWORD src1_sel:WORD_1
	v_sub_f16_e32 v36, v16, v36
	v_sub_f16_e32 v57, v24, v57
	;; [unrolled: 1-line block ×3, first 2 shown]
	v_add_f16_e32 v40, v58, v40
	v_fma_f16 v37, v37, v0, -v75
	v_fma_f16 v60, v60, v0, v76
	v_fma_f16 v39, v39, v1, -v77
	v_fma_f16 v61, v61, v1, v78
	v_fma_f16 v67, v47, v14, -v67
	v_mul_f16_sdwa v47, v47, v14 dst_sel:DWORD dst_unused:UNUSED_PAD src0_sel:DWORD src1_sel:WORD_1
	v_fma_f16 v16, v16, 2.0, -v36
	v_fma_f16 v24, v24, 2.0, -v57
	;; [unrolled: 1-line block ×4, first 2 shown]
	v_fma_f16 v47, v68, v14, v47
	v_sub_f16_e32 v39, v17, v39
	v_sub_f16_e32 v61, v54, v61
	;; [unrolled: 1-line block ×4, first 2 shown]
	v_pack_b32_f16 v7, v16, v24
	v_pack_b32_f16 v16, v38, v58
	v_fma_f16 v17, v17, 2.0, -v39
	v_fma_f16 v54, v54, 2.0, -v61
	;; [unrolled: 1-line block ×4, first 2 shown]
	ds_write2_b32 v11, v7, v16 offset1:17
	v_pack_b32_f16 v7, v36, v57
	v_pack_b32_f16 v16, v59, v40
	v_sub_f16_e32 v37, v17, v37
	v_sub_f16_e32 v60, v54, v60
	v_sub_f16_e32 v41, v39, v41
	v_add_f16_e32 v68, v61, v68
	ds_write2_b32 v11, v7, v16 offset0:34 offset1:51
	v_mul_u32_u24_e32 v7, 0x44, v15
	v_fma_f16 v17, v17, 2.0, -v37
	v_fma_f16 v54, v54, 2.0, -v60
	;; [unrolled: 1-line block ×4, first 2 shown]
	v_add_u32_e32 v7, v7, v18
	v_sub_f16_e32 v63, v20, v63
	v_sub_f16_e32 v44, v55, v44
	;; [unrolled: 1-line block ×4, first 2 shown]
	v_add_lshl_u32 v15, v27, v7, 2
	v_pack_b32_f16 v7, v17, v54
	v_pack_b32_f16 v16, v39, v61
	v_fma_f16 v20, v20, 2.0, -v63
	v_fma_f16 v55, v55, 2.0, -v44
	;; [unrolled: 1-line block ×4, first 2 shown]
	ds_write2_b32 v15, v7, v16 offset1:17
	v_pack_b32_f16 v7, v37, v60
	v_pack_b32_f16 v16, v41, v68
	v_sub_f16_e32 v62, v20, v62
	v_sub_f16_e32 v42, v55, v42
	v_sub_f16_e32 v46, v63, v46
	v_add_f16_e32 v64, v44, v64
	ds_write2_b32 v15, v7, v16 offset0:34 offset1:51
	v_mul_u32_u24_e32 v7, 0x44, v26
	v_fma_f16 v20, v20, 2.0, -v62
	v_fma_f16 v55, v55, 2.0, -v42
	;; [unrolled: 1-line block ×4, first 2 shown]
	v_sub_f16_e32 v66, v21, v66
	v_sub_f16_e32 v45, v56, v45
	v_sub_f16_e32 v67, v65, v67
	v_sub_f16_e32 v47, v43, v47
	v_add_u32_e32 v7, v7, v49
	v_fma_f16 v21, v21, 2.0, -v66
	v_fma_f16 v56, v56, 2.0, -v45
	;; [unrolled: 1-line block ×4, first 2 shown]
	v_add_lshl_u32 v49, v27, v7, 2
	v_pack_b32_f16 v7, v20, v55
	v_pack_b32_f16 v16, v63, v44
	v_sub_f16_e32 v65, v21, v65
	v_sub_f16_e32 v43, v56, v43
	;; [unrolled: 1-line block ×3, first 2 shown]
	v_add_f16_e32 v67, v45, v67
	ds_write2_b32 v49, v7, v16 offset1:17
	v_pack_b32_f16 v7, v62, v42
	v_pack_b32_f16 v16, v46, v64
	v_fma_f16 v21, v21, 2.0, -v65
	v_fma_f16 v56, v56, 2.0, -v43
	;; [unrolled: 1-line block ×4, first 2 shown]
	ds_write2_b32 v49, v7, v16 offset0:34 offset1:51
	v_mad_legacy_u16 v7, v50, s0, v53
	v_add_lshl_u32 v50, v27, v7, 2
	v_pack_b32_f16 v7, v21, v56
	v_pack_b32_f16 v16, v66, v45
	ds_write2_b32 v50, v7, v16 offset1:17
	v_pack_b32_f16 v7, v65, v43
	v_pack_b32_f16 v16, v47, v67
	ds_write2_b32 v50, v7, v16 offset0:34 offset1:51
	v_mad_u64_u32 v[16:17], s[0:1], v28, 12, s[4:5]
	s_waitcnt lgkmcnt(0)
	s_barrier
	global_load_dwordx3 v[16:18], v[16:17], off offset:204
	s_movk_i32 s0, 0x79
	v_mul_lo_u16_sdwa v7, v22, s0 dst_sel:DWORD dst_unused:UNUSED_PAD src0_sel:BYTE_0 src1_sel:DWORD
	v_lshrrev_b16_e32 v7, 13, v7
	v_mul_lo_u16_e32 v7, 0x44, v7
	v_sub_u16_e32 v7, v22, v7
	v_and_b32_e32 v7, 0xff, v7
	v_mad_u64_u32 v[20:21], s[0:1], v7, 12, s[4:5]
	global_load_dwordx3 v[20:22], v[20:21], off offset:204
	v_lshrrev_b32_e32 v24, 22, v52
	v_mul_lo_u16_e32 v24, 0x44, v24
	v_sub_u16_e32 v51, v51, v24
	v_mul_lo_u16_e32 v24, 12, v51
	v_lshl_add_u64 v[24:25], s[4:5], 0, v[24:25]
	global_load_dwordx3 v[24:26], v[24:25], off offset:204
	ds_read2_b32 v[36:37], v3 offset1:68
	ds_read2_b32 v[38:39], v32 offset0:16 offset1:84
	ds_read2_b32 v[40:41], v35 offset0:32 offset1:100
	;; [unrolled: 1-line block ×7, first 2 shown]
	s_waitcnt lgkmcnt(7)
	v_lshrrev_b32_e32 v56, 16, v36
	s_waitcnt lgkmcnt(6)
	v_lshrrev_b32_e32 v57, 16, v38
	;; [unrolled: 2-line block ×4, first 2 shown]
	v_lshrrev_b32_e32 v61, 16, v39
	v_lshrrev_b32_e32 v62, 16, v41
	;; [unrolled: 1-line block ×3, first 2 shown]
	s_waitcnt lgkmcnt(2)
	v_lshrrev_b32_e32 v65, 16, v46
	s_waitcnt lgkmcnt(1)
	v_lshrrev_b32_e32 v66, 16, v52
	;; [unrolled: 2-line block ×3, first 2 shown]
	v_lshrrev_b32_e32 v69, 16, v47
	v_lshrrev_b32_e32 v70, 16, v53
	;; [unrolled: 1-line block ×6, first 2 shown]
	s_barrier
	s_waitcnt vmcnt(2)
	v_mul_f16_sdwa v72, v57, v16 dst_sel:DWORD dst_unused:UNUSED_PAD src0_sel:DWORD src1_sel:WORD_1
	v_fma_f16 v72, v38, v16, -v72
	v_mul_f16_sdwa v38, v38, v16 dst_sel:DWORD dst_unused:UNUSED_PAD src0_sel:DWORD src1_sel:WORD_1
	v_fma_f16 v38, v57, v16, v38
	v_mul_f16_sdwa v57, v58, v17 dst_sel:DWORD dst_unused:UNUSED_PAD src0_sel:DWORD src1_sel:WORD_1
	v_fma_f16 v57, v40, v17, -v57
	v_mul_f16_sdwa v40, v40, v17 dst_sel:DWORD dst_unused:UNUSED_PAD src0_sel:DWORD src1_sel:WORD_1
	v_fma_f16 v40, v58, v17, v40
	;; [unrolled: 4-line block ×6, first 2 shown]
	s_waitcnt vmcnt(1)
	v_mul_f16_sdwa v63, v65, v20 dst_sel:DWORD dst_unused:UNUSED_PAD src0_sel:DWORD src1_sel:WORD_1
	v_fma_f16 v63, v46, v20, -v63
	v_mul_f16_sdwa v46, v46, v20 dst_sel:DWORD dst_unused:UNUSED_PAD src0_sel:DWORD src1_sel:WORD_1
	v_fma_f16 v46, v65, v20, v46
	v_mul_f16_sdwa v65, v66, v21 dst_sel:DWORD dst_unused:UNUSED_PAD src0_sel:DWORD src1_sel:WORD_1
	v_fma_f16 v65, v52, v21, -v65
	v_mul_f16_sdwa v52, v52, v21 dst_sel:DWORD dst_unused:UNUSED_PAD src0_sel:DWORD src1_sel:WORD_1
	v_fma_f16 v52, v66, v21, v52
	;; [unrolled: 4-line block ×3, first 2 shown]
	s_waitcnt vmcnt(0)
	v_mul_f16_sdwa v67, v69, v24 dst_sel:DWORD dst_unused:UNUSED_PAD src0_sel:DWORD src1_sel:WORD_1
	v_fma_f16 v67, v47, v24, -v67
	v_mul_f16_sdwa v47, v47, v24 dst_sel:DWORD dst_unused:UNUSED_PAD src0_sel:DWORD src1_sel:WORD_1
	v_fma_f16 v47, v69, v24, v47
	v_mul_f16_sdwa v69, v70, v25 dst_sel:DWORD dst_unused:UNUSED_PAD src0_sel:DWORD src1_sel:WORD_1
	v_fma_f16 v69, v53, v25, -v69
	v_mul_f16_sdwa v53, v53, v25 dst_sel:DWORD dst_unused:UNUSED_PAD src0_sel:DWORD src1_sel:WORD_1
	v_fma_f16 v53, v70, v25, v53
	v_mul_f16_sdwa v70, v71, v26 dst_sel:DWORD dst_unused:UNUSED_PAD src0_sel:DWORD src1_sel:WORD_1
	v_fma_f16 v70, v55, v26, -v70
	v_mul_f16_sdwa v55, v55, v26 dst_sel:DWORD dst_unused:UNUSED_PAD src0_sel:DWORD src1_sel:WORD_1
	v_sub_f16_e32 v57, v36, v57
	v_sub_f16_e32 v40, v56, v40
	;; [unrolled: 1-line block ×4, first 2 shown]
	v_fma_f16 v55, v71, v26, v55
	v_fma_f16 v36, v36, 2.0, -v57
	v_fma_f16 v56, v56, 2.0, -v40
	;; [unrolled: 1-line block ×4, first 2 shown]
	v_sub_f16_e32 v71, v36, v71
	v_sub_f16_e32 v38, v56, v38
	;; [unrolled: 1-line block ×3, first 2 shown]
	v_add_f16_e32 v58, v40, v58
	v_sub_f16_e32 v61, v37, v61
	v_sub_f16_e32 v41, v60, v41
	;; [unrolled: 1-line block ×4, first 2 shown]
	v_fma_f16 v36, v36, 2.0, -v71
	v_fma_f16 v56, v56, 2.0, -v38
	;; [unrolled: 1-line block ×8, first 2 shown]
	v_sub_f16_e32 v59, v37, v59
	v_sub_f16_e32 v39, v60, v39
	;; [unrolled: 1-line block ×3, first 2 shown]
	v_add_f16_e32 v62, v41, v62
	v_sub_f16_e32 v65, v44, v65
	v_sub_f16_e32 v52, v64, v52
	;; [unrolled: 1-line block ×4, first 2 shown]
	v_pack_b32_f16 v36, v36, v56
	v_pack_b32_f16 v40, v57, v40
	v_fma_f16 v37, v37, 2.0, -v59
	v_fma_f16 v60, v60, 2.0, -v39
	;; [unrolled: 1-line block ×8, first 2 shown]
	ds_write2_b32 v3, v36, v40 offset1:68
	v_pack_b32_f16 v36, v71, v38
	v_pack_b32_f16 v38, v42, v58
	v_sub_f16_e32 v63, v44, v63
	v_sub_f16_e32 v46, v64, v46
	;; [unrolled: 1-line block ×3, first 2 shown]
	v_add_f16_e32 v66, v52, v66
	v_sub_f16_e32 v69, v45, v69
	v_sub_f16_e32 v53, v68, v53
	;; [unrolled: 1-line block ×4, first 2 shown]
	ds_write2_b32 v3, v36, v38 offset0:136 offset1:204
	v_pack_b32_f16 v36, v37, v60
	v_pack_b32_f16 v37, v61, v41
	v_fma_f16 v44, v44, 2.0, -v63
	v_fma_f16 v64, v64, 2.0, -v46
	;; [unrolled: 1-line block ×8, first 2 shown]
	v_sub_f16_e32 v72, v69, v55
	ds_write2_b32 v32, v36, v37 offset0:16 offset1:84
	v_pack_b32_f16 v36, v59, v39
	v_pack_b32_f16 v37, v43, v62
	v_add_lshl_u32 v55, v27, v7, 2
	v_sub_f16_e32 v67, v45, v67
	v_sub_f16_e32 v47, v68, v47
	v_add_f16_e32 v70, v53, v70
	ds_write2_b32 v32, v36, v37 offset0:152 offset1:220
	v_pack_b32_f16 v7, v44, v64
	v_pack_b32_f16 v36, v65, v52
	v_add_u32_e32 v37, 0x800, v55
	v_fma_f16 v45, v45, 2.0, -v67
	v_fma_f16 v68, v68, 2.0, -v47
	;; [unrolled: 1-line block ×4, first 2 shown]
	ds_write2_b32 v37, v7, v36 offset0:32 offset1:100
	v_pack_b32_f16 v7, v63, v46
	v_pack_b32_f16 v36, v54, v66
	v_add_lshl_u32 v56, v27, v51, 2
	ds_write2_b32 v37, v7, v36 offset0:168 offset1:236
	v_pack_b32_f16 v7, v45, v68
	v_pack_b32_f16 v36, v69, v53
	v_add_u32_e32 v37, 0xc00, v56
	ds_write2_b32 v37, v7, v36 offset0:48 offset1:116
	v_pack_b32_f16 v7, v67, v47
	v_pack_b32_f16 v36, v72, v70
	ds_write2_b32 v37, v7, v36 offset0:184 offset1:252
	v_lshlrev_b32_e32 v7, 2, v28
	s_waitcnt lgkmcnt(0)
	s_barrier
	global_load_dword v51, v7, s[4:5] offset:1020
	global_load_dword v52, v7, s[4:5] offset:1292
	;; [unrolled: 1-line block ×4, first 2 shown]
	ds_read2_b32 v[36:37], v3 offset1:68
	ds_read2_b32 v[38:39], v35 offset0:32 offset1:100
	ds_read2_b32 v[42:43], v35 offset0:168 offset1:236
	;; [unrolled: 1-line block ×5, first 2 shown]
	s_waitcnt lgkmcnt(4)
	v_lshrrev_b32_e32 v62, 16, v38
	v_lshrrev_b32_e32 v64, 16, v39
	s_waitcnt lgkmcnt(3)
	v_lshrrev_b32_e32 v66, 16, v42
	v_lshrrev_b32_e32 v68, 16, v43
	ds_read2_b32 v[58:59], v32 offset0:152 offset1:220
	ds_read2_b32 v[60:61], v34 offset0:184 offset1:252
	s_waitcnt lgkmcnt(4)
	v_lshrrev_b32_e32 v70, 16, v46
	v_lshrrev_b32_e32 v72, 16, v47
	;; [unrolled: 1-line block ×4, first 2 shown]
	s_waitcnt lgkmcnt(0)
	v_lshrrev_b32_e32 v74, 16, v60
	v_lshrrev_b32_e32 v76, 16, v61
	;; [unrolled: 1-line block ×6, first 2 shown]
	s_barrier
	v_lshrrev_b32_e32 v73, 16, v58
	v_lshrrev_b32_e32 v75, 16, v59
	s_waitcnt vmcnt(3)
	v_mul_f16_sdwa v77, v62, v51 dst_sel:DWORD dst_unused:UNUSED_PAD src0_sel:DWORD src1_sel:WORD_1
	v_fma_f16 v77, v38, v51, -v77
	v_mul_f16_sdwa v38, v38, v51 dst_sel:DWORD dst_unused:UNUSED_PAD src0_sel:DWORD src1_sel:WORD_1
	v_fma_f16 v38, v62, v51, v38
	s_waitcnt vmcnt(2)
	v_mul_f16_sdwa v62, v64, v52 dst_sel:DWORD dst_unused:UNUSED_PAD src0_sel:DWORD src1_sel:WORD_1
	v_fma_f16 v62, v39, v52, -v62
	v_mul_f16_sdwa v39, v39, v52 dst_sel:DWORD dst_unused:UNUSED_PAD src0_sel:DWORD src1_sel:WORD_1
	v_fma_f16 v39, v64, v52, v39
	;; [unrolled: 5-line block ×4, first 2 shown]
	v_mul_f16_sdwa v68, v70, v51 dst_sel:DWORD dst_unused:UNUSED_PAD src0_sel:DWORD src1_sel:WORD_1
	v_fma_f16 v68, v46, v51, -v68
	v_mul_f16_sdwa v46, v46, v51 dst_sel:DWORD dst_unused:UNUSED_PAD src0_sel:DWORD src1_sel:WORD_1
	v_fma_f16 v46, v70, v51, v46
	v_mul_f16_sdwa v70, v72, v52 dst_sel:DWORD dst_unused:UNUSED_PAD src0_sel:DWORD src1_sel:WORD_1
	v_fma_f16 v70, v47, v52, -v70
	v_mul_f16_sdwa v47, v47, v52 dst_sel:DWORD dst_unused:UNUSED_PAD src0_sel:DWORD src1_sel:WORD_1
	v_fma_f16 v47, v72, v52, v47
	;; [unrolled: 4-line block ×4, first 2 shown]
	v_sub_f16_e32 v76, v36, v77
	v_sub_f16_e32 v38, v57, v38
	;; [unrolled: 1-line block ×4, first 2 shown]
	v_fma_f16 v36, v36, 2.0, -v76
	v_fma_f16 v57, v57, 2.0, -v38
	;; [unrolled: 1-line block ×4, first 2 shown]
	v_sub_f16_e32 v64, v40, v64
	v_sub_f16_e32 v42, v65, v42
	;; [unrolled: 1-line block ×4, first 2 shown]
	v_pack_b32_f16 v36, v36, v57
	v_pack_b32_f16 v37, v37, v63
	v_fma_f16 v40, v40, 2.0, -v64
	v_fma_f16 v65, v65, 2.0, -v42
	;; [unrolled: 1-line block ×4, first 2 shown]
	v_pack_b32_f16 v38, v76, v38
	ds_write2_b32 v3, v36, v37 offset1:68
	v_pack_b32_f16 v36, v62, v39
	v_sub_f16_e32 v68, v44, v68
	v_sub_f16_e32 v46, v69, v46
	;; [unrolled: 1-line block ×4, first 2 shown]
	ds_write2_b32 v32, v38, v36 offset0:16 offset1:84
	v_pack_b32_f16 v36, v40, v65
	v_pack_b32_f16 v38, v41, v67
	v_fma_f16 v44, v44, 2.0, -v68
	v_fma_f16 v69, v69, 2.0, -v46
	;; [unrolled: 1-line block ×4, first 2 shown]
	v_pack_b32_f16 v37, v64, v42
	ds_write2_b32 v3, v36, v38 offset0:136 offset1:204
	v_pack_b32_f16 v36, v66, v43
	v_sub_f16_e32 v72, v58, v72
	v_sub_f16_e32 v60, v73, v60
	;; [unrolled: 1-line block ×4, first 2 shown]
	ds_write2_b32 v32, v37, v36 offset0:152 offset1:220
	v_pack_b32_f16 v36, v44, v69
	v_pack_b32_f16 v38, v45, v71
	v_fma_f16 v58, v58, 2.0, -v72
	v_fma_f16 v73, v73, 2.0, -v60
	v_fma_f16 v59, v59, 2.0, -v74
	v_fma_f16 v75, v75, 2.0, -v61
	v_pack_b32_f16 v37, v68, v46
	ds_write2_b32 v35, v36, v38 offset0:32 offset1:100
	v_pack_b32_f16 v36, v70, v47
	ds_write2_b32 v34, v37, v36 offset0:48 offset1:116
	v_pack_b32_f16 v36, v58, v73
	v_pack_b32_f16 v38, v59, v75
	;; [unrolled: 1-line block ×3, first 2 shown]
	ds_write2_b32 v35, v36, v38 offset0:168 offset1:236
	v_pack_b32_f16 v36, v74, v61
	ds_write2_b32 v34, v37, v36 offset0:184 offset1:252
	s_waitcnt lgkmcnt(0)
	s_barrier
	global_load_dword v57, v7, s[4:5] offset:2108
	global_load_dword v58, v7, s[4:5] offset:2380
	;; [unrolled: 1-line block ×8, first 2 shown]
	ds_read2_b32 v[36:37], v3 offset1:68
	ds_read2_b32 v[38:39], v35 offset0:32 offset1:100
	ds_read2_b32 v[42:43], v35 offset0:168 offset1:236
	;; [unrolled: 1-line block ×5, first 2 shown]
	s_waitcnt lgkmcnt(4)
	v_lshrrev_b32_e32 v68, 16, v38
	ds_read2_b32 v[66:67], v32 offset0:152 offset1:220
	ds_read2_b32 v[34:35], v34 offset0:184 offset1:252
	v_lshrrev_b32_e32 v69, 16, v39
	s_waitcnt lgkmcnt(5)
	v_lshrrev_b32_e32 v70, 16, v42
	v_lshrrev_b32_e32 v71, 16, v43
	s_waitcnt lgkmcnt(4)
	v_lshrrev_b32_e32 v32, 16, v46
	s_waitcnt lgkmcnt(0)
	v_lshrrev_b32_e32 v75, 16, v34
	v_lshrrev_b32_e32 v78, 16, v35
	;; [unrolled: 1-line block ×11, first 2 shown]
	s_waitcnt vmcnt(7)
	v_mul_f16_sdwa v79, v68, v57 dst_sel:DWORD dst_unused:UNUSED_PAD src0_sel:DWORD src1_sel:WORD_1
	v_fma_f16 v79, v38, v57, -v79
	v_mul_f16_sdwa v38, v38, v57 dst_sel:DWORD dst_unused:UNUSED_PAD src0_sel:DWORD src1_sel:WORD_1
	v_fma_f16 v38, v68, v57, v38
	s_waitcnt vmcnt(6)
	v_mul_f16_sdwa v68, v69, v58 dst_sel:DWORD dst_unused:UNUSED_PAD src0_sel:DWORD src1_sel:WORD_1
	v_fma_f16 v81, v39, v58, -v68
	s_waitcnt vmcnt(5)
	v_mul_f16_sdwa v68, v70, v59 dst_sel:DWORD dst_unused:UNUSED_PAD src0_sel:DWORD src1_sel:WORD_1
	v_fma_f16 v83, v42, v59, -v68
	;; [unrolled: 3-line block ×5, first 2 shown]
	v_mul_f16_sdwa v34, v34, v63 dst_sel:DWORD dst_unused:UNUSED_PAD src0_sel:DWORD src1_sel:WORD_1
	v_fma_f16 v88, v75, v63, v34
	s_waitcnt vmcnt(0)
	v_mul_f16_sdwa v34, v78, v64 dst_sel:DWORD dst_unused:UNUSED_PAD src0_sel:DWORD src1_sel:WORD_1
	v_mul_f16_sdwa v46, v46, v61 dst_sel:DWORD dst_unused:UNUSED_PAD src0_sel:DWORD src1_sel:WORD_1
	v_fma_f16 v89, v35, v64, -v34
	v_mul_f16_sdwa v34, v35, v64 dst_sel:DWORD dst_unused:UNUSED_PAD src0_sel:DWORD src1_sel:WORD_1
	v_mul_f16_sdwa v39, v39, v58 dst_sel:DWORD dst_unused:UNUSED_PAD src0_sel:DWORD src1_sel:WORD_1
	;; [unrolled: 1-line block ×3, first 2 shown]
	v_fma_f16 v32, v32, v61, v46
	v_mul_f16_sdwa v46, v73, v62 dst_sel:DWORD dst_unused:UNUSED_PAD src0_sel:DWORD src1_sel:WORD_1
	v_fma_f16 v90, v78, v64, v34
	v_sub_f16_e32 v34, v36, v79
	v_fma_f16 v39, v69, v58, v39
	v_fma_f16 v42, v70, v59, v42
	v_mul_f16_sdwa v43, v43, v60 dst_sel:DWORD dst_unused:UNUSED_PAD src0_sel:DWORD src1_sel:WORD_1
	v_fma_f16 v46, v47, v62, -v46
	v_mul_f16_sdwa v47, v47, v62 dst_sel:DWORD dst_unused:UNUSED_PAD src0_sel:DWORD src1_sel:WORD_1
	v_sub_f16_e32 v70, v65, v38
	v_fma_f16 v68, v36, 2.0, -v34
	v_sub_f16_e32 v36, v37, v81
	v_sub_f16_e32 v38, v40, v83
	v_fma_f16 v43, v71, v60, v43
	v_fma_f16 v47, v73, v62, v47
	v_sub_f16_e32 v71, v72, v39
	v_fma_f16 v35, v37, 2.0, -v36
	v_sub_f16_e32 v73, v74, v42
	v_fma_f16 v37, v40, 2.0, -v38
	v_sub_f16_e32 v40, v41, v85
	v_sub_f16_e32 v42, v44, v86
	v_fma_f16 v69, v65, 2.0, -v70
	v_fma_f16 v72, v72, 2.0, -v71
	v_fma_f16 v39, v41, 2.0, -v40
	v_fma_f16 v41, v44, 2.0, -v42
	v_sub_f16_e32 v44, v45, v46
	v_sub_f16_e32 v46, v66, v87
	;; [unrolled: 1-line block ×4, first 2 shown]
	v_fma_f16 v43, v45, 2.0, -v44
	v_fma_f16 v45, v66, 2.0, -v46
	v_sub_f16_e32 v32, v67, v89
	v_lshl_add_u32 v65, v28, 2, v31
	v_pack_b32_f16 v66, v68, v69
	v_pack_b32_f16 v85, v35, v72
	v_fma_f16 v74, v74, 2.0, -v73
	v_fma_f16 v76, v76, 2.0, -v75
	v_sub_f16_e32 v79, v80, v47
	v_fma_f16 v47, v67, 2.0, -v32
	v_pack_b32_f16 v67, v34, v70
	ds_write2_b32 v65, v66, v85 offset1:68
	v_pack_b32_f16 v66, v36, v71
	v_add_u32_e32 v85, 0x800, v65
	ds_write2_b32 v85, v67, v66 offset0:32 offset1:100
	v_pack_b32_f16 v66, v37, v74
	v_pack_b32_f16 v86, v39, v76
	v_fma_f16 v77, v77, 2.0, -v78
	v_fma_f16 v80, v80, 2.0, -v79
	v_pack_b32_f16 v67, v38, v73
	ds_write2_b32 v65, v66, v86 offset0:136 offset1:204
	v_pack_b32_f16 v66, v40, v75
	v_sub_f16_e32 v81, v82, v88
	ds_write2_b32 v85, v67, v66 offset0:168 offset1:236
	v_pack_b32_f16 v66, v41, v77
	v_pack_b32_f16 v85, v43, v80
	v_add_u32_e32 v86, 0x400, v65
	v_fma_f16 v82, v82, 2.0, -v81
	v_pack_b32_f16 v67, v42, v78
	ds_write2_b32 v86, v66, v85 offset0:16 offset1:84
	v_pack_b32_f16 v66, v44, v79
	v_add_u32_e32 v85, 0xc00, v65
	v_sub_f16_e32 v83, v84, v90
	ds_write2_b32 v85, v67, v66 offset0:48 offset1:116
	v_pack_b32_f16 v66, v45, v82
	v_fma_f16 v84, v84, 2.0, -v83
	ds_write_b32 v65, v66 offset:1632
	v_add_u32_e32 v66, v7, v31
	v_pack_b32_f16 v67, v46, v81
	ds_write_b32 v66, v67 offset:3808
	v_pack_b32_f16 v67, v47, v84
	ds_write_b32 v65, v67 offset:1904
	;; [unrolled: 2-line block ×3, first 2 shown]
	s_waitcnt lgkmcnt(0)
	s_barrier
	s_and_saveexec_b64 s[0:1], vcc
	s_cbranch_execz .LBB0_9
; %bb.8:
	s_add_u32 s4, s12, 0x1100
	s_addc_u32 s5, s13, 0
	global_load_dword v67, v19, s[4:5]
	global_load_dword v85, v19, s[4:5] offset:256
	global_load_dword v102, v19, s[4:5] offset:512
	;; [unrolled: 1-line block ×10, first 2 shown]
	ds_read_b32 v86, v29
	v_or_b32_e32 v87, 0x1000, v19
	global_load_dword v111, v19, s[4:5] offset:2816
	global_load_dword v112, v19, s[4:5] offset:3072
	;; [unrolled: 1-line block ×5, first 2 shown]
	global_load_dword v116, v87, s[4:5]
	s_waitcnt lgkmcnt(0)
	v_lshrrev_b32_e32 v87, 16, v86
	s_waitcnt vmcnt(16)
	v_mul_f16_sdwa v88, v87, v67 dst_sel:DWORD dst_unused:UNUSED_PAD src0_sel:DWORD src1_sel:WORD_1
	v_mul_f16_sdwa v89, v86, v67 dst_sel:DWORD dst_unused:UNUSED_PAD src0_sel:DWORD src1_sel:WORD_1
	v_fma_f16 v86, v86, v67, -v88
	v_fma_f16 v67, v87, v67, v89
	v_pack_b32_f16 v67, v86, v67
	ds_write_b32 v29, v67
	ds_read2st64_b32 v[86:87], v65 offset0:1 offset1:2
	ds_read2st64_b32 v[88:89], v65 offset0:3 offset1:4
	;; [unrolled: 1-line block ×8, first 2 shown]
	s_waitcnt lgkmcnt(7)
	v_lshrrev_b32_e32 v67, 16, v86
	s_waitcnt vmcnt(15)
	v_mul_f16_sdwa v117, v86, v85 dst_sel:DWORD dst_unused:UNUSED_PAD src0_sel:DWORD src1_sel:WORD_1
	v_lshrrev_b32_e32 v118, 16, v87
	s_waitcnt vmcnt(14)
	v_mul_f16_sdwa v119, v87, v102 dst_sel:DWORD dst_unused:UNUSED_PAD src0_sel:DWORD src1_sel:WORD_1
	s_waitcnt lgkmcnt(6)
	v_lshrrev_b32_e32 v120, 16, v88
	s_waitcnt vmcnt(13)
	v_mul_f16_sdwa v121, v88, v103 dst_sel:DWORD dst_unused:UNUSED_PAD src0_sel:DWORD src1_sel:WORD_1
	v_lshrrev_b32_e32 v122, 16, v89
	s_waitcnt vmcnt(12)
	v_mul_f16_sdwa v123, v89, v104 dst_sel:DWORD dst_unused:UNUSED_PAD src0_sel:DWORD src1_sel:WORD_1
	;; [unrolled: 7-line block ×3, first 2 shown]
	s_waitcnt lgkmcnt(4)
	v_lshrrev_b32_e32 v128, 16, v92
	s_waitcnt vmcnt(9)
	v_mul_f16_sdwa v129, v92, v107 dst_sel:DWORD dst_unused:UNUSED_PAD src0_sel:DWORD src1_sel:WORD_1
	v_lshrrev_b32_e32 v130, 16, v93
	v_mul_f16_sdwa v135, v67, v85 dst_sel:DWORD dst_unused:UNUSED_PAD src0_sel:DWORD src1_sel:WORD_1
	v_fma_f16 v67, v67, v85, v117
	v_mul_f16_sdwa v117, v118, v102 dst_sel:DWORD dst_unused:UNUSED_PAD src0_sel:DWORD src1_sel:WORD_1
	s_waitcnt vmcnt(8)
	v_mul_f16_sdwa v131, v93, v108 dst_sel:DWORD dst_unused:UNUSED_PAD src0_sel:DWORD src1_sel:WORD_1
	v_fma_f16 v118, v118, v102, v119
	v_mul_f16_sdwa v119, v120, v103 dst_sel:DWORD dst_unused:UNUSED_PAD src0_sel:DWORD src1_sel:WORD_1
	v_fma_f16 v120, v120, v103, v121
	;; [unrolled: 2-line block ×6, first 2 shown]
	v_mul_f16_sdwa v129, v130, v108 dst_sel:DWORD dst_unused:UNUSED_PAD src0_sel:DWORD src1_sel:WORD_1
	v_fma_f16 v85, v86, v85, -v135
	v_fma_f16 v86, v87, v102, -v117
	s_waitcnt lgkmcnt(3)
	v_lshrrev_b32_e32 v132, 16, v94
	s_waitcnt vmcnt(7)
	v_mul_f16_sdwa v133, v94, v109 dst_sel:DWORD dst_unused:UNUSED_PAD src0_sel:DWORD src1_sel:WORD_1
	v_lshrrev_b32_e32 v134, 16, v95
	v_fma_f16 v130, v130, v108, v131
	v_fma_f16 v87, v88, v103, -v119
	v_fma_f16 v88, v89, v104, -v121
	;; [unrolled: 1-line block ×6, first 2 shown]
	v_pack_b32_f16 v67, v85, v67
	v_pack_b32_f16 v85, v86, v118
	v_mul_f16_sdwa v131, v132, v109 dst_sel:DWORD dst_unused:UNUSED_PAD src0_sel:DWORD src1_sel:WORD_1
	v_fma_f16 v132, v132, v109, v133
	s_waitcnt vmcnt(6)
	v_mul_f16_sdwa v133, v134, v110 dst_sel:DWORD dst_unused:UNUSED_PAD src0_sel:DWORD src1_sel:WORD_1
	v_pack_b32_f16 v86, v87, v120
	v_pack_b32_f16 v87, v88, v122
	;; [unrolled: 1-line block ×6, first 2 shown]
	ds_write2st64_b32 v65, v67, v85 offset0:1 offset1:2
	ds_write2st64_b32 v65, v86, v87 offset0:3 offset1:4
	;; [unrolled: 1-line block ×4, first 2 shown]
	v_mul_f16_sdwa v85, v95, v110 dst_sel:DWORD dst_unused:UNUSED_PAD src0_sel:DWORD src1_sel:WORD_1
	v_fma_f16 v93, v94, v109, -v131
	v_fma_f16 v67, v95, v110, -v133
	v_fma_f16 v85, v134, v110, v85
	v_pack_b32_f16 v92, v93, v132
	v_pack_b32_f16 v67, v67, v85
	ds_write2st64_b32 v65, v92, v67 offset0:9 offset1:10
	s_waitcnt lgkmcnt(7)
	v_lshrrev_b32_e32 v67, 16, v96
	s_waitcnt vmcnt(5)
	v_mul_f16_sdwa v85, v67, v111 dst_sel:DWORD dst_unused:UNUSED_PAD src0_sel:DWORD src1_sel:WORD_1
	v_mul_f16_sdwa v86, v96, v111 dst_sel:DWORD dst_unused:UNUSED_PAD src0_sel:DWORD src1_sel:WORD_1
	v_fma_f16 v85, v96, v111, -v85
	v_fma_f16 v67, v67, v111, v86
	v_pack_b32_f16 v67, v85, v67
	v_lshrrev_b32_e32 v85, 16, v97
	s_waitcnt vmcnt(4)
	v_mul_f16_sdwa v86, v85, v112 dst_sel:DWORD dst_unused:UNUSED_PAD src0_sel:DWORD src1_sel:WORD_1
	v_mul_f16_sdwa v87, v97, v112 dst_sel:DWORD dst_unused:UNUSED_PAD src0_sel:DWORD src1_sel:WORD_1
	v_fma_f16 v86, v97, v112, -v86
	v_fma_f16 v85, v85, v112, v87
	v_pack_b32_f16 v85, v86, v85
	ds_write2st64_b32 v65, v67, v85 offset0:11 offset1:12
	s_waitcnt lgkmcnt(7)
	v_lshrrev_b32_e32 v67, 16, v98
	s_waitcnt vmcnt(3)
	v_mul_f16_sdwa v85, v67, v113 dst_sel:DWORD dst_unused:UNUSED_PAD src0_sel:DWORD src1_sel:WORD_1
	v_mul_f16_sdwa v86, v98, v113 dst_sel:DWORD dst_unused:UNUSED_PAD src0_sel:DWORD src1_sel:WORD_1
	v_fma_f16 v85, v98, v113, -v85
	v_fma_f16 v67, v67, v113, v86
	v_pack_b32_f16 v67, v85, v67
	v_lshrrev_b32_e32 v85, 16, v99
	s_waitcnt vmcnt(2)
	v_mul_f16_sdwa v86, v85, v114 dst_sel:DWORD dst_unused:UNUSED_PAD src0_sel:DWORD src1_sel:WORD_1
	v_mul_f16_sdwa v87, v99, v114 dst_sel:DWORD dst_unused:UNUSED_PAD src0_sel:DWORD src1_sel:WORD_1
	v_fma_f16 v86, v99, v114, -v86
	v_fma_f16 v85, v85, v114, v87
	;; [unrolled: 16-line block ×3, first 2 shown]
	v_pack_b32_f16 v85, v86, v85
	ds_write2st64_b32 v65, v67, v85 offset0:15 offset1:16
.LBB0_9:
	s_or_b64 exec, exec, s[0:1]
	s_waitcnt lgkmcnt(0)
	s_barrier
	s_and_saveexec_b64 s[0:1], vcc
	s_cbranch_execz .LBB0_11
; %bb.10:
	ds_read_b32 v68, v29
	ds_read2st64_b32 v[34:35], v65 offset0:1 offset1:2
	ds_read2st64_b32 v[36:37], v65 offset0:3 offset1:4
	;; [unrolled: 1-line block ×8, first 2 shown]
	s_waitcnt lgkmcnt(8)
	v_lshrrev_b32_e32 v69, 16, v68
	s_waitcnt lgkmcnt(7)
	v_lshrrev_b32_e32 v70, 16, v34
	v_lshrrev_b32_e32 v72, 16, v35
	s_waitcnt lgkmcnt(6)
	v_lshrrev_b32_e32 v71, 16, v36
	;; [unrolled: 3-line block ×8, first 2 shown]
	v_lshrrev_b32_e32 v48, 16, v33
.LBB0_11:
	s_or_b64 exec, exec, s[0:1]
	v_add_u32_e32 v67, 0x660, v66
	v_add_u32_e32 v66, 0x770, v66
	s_barrier
	s_and_saveexec_b64 s[0:1], vcc
	s_cbranch_execz .LBB0_13
; %bb.12:
	v_sub_f16_e32 v85, v34, v33
	v_mul_f16_e32 v114, 0xb964, v85
	v_add_f16_e32 v104, v48, v70
	s_movk_i32 s4, 0x39e9
	v_sub_f16_e32 v87, v35, v32
	v_fma_f16 v86, v104, s4, v114
	v_mul_f16_e32 v117, 0xbbf7, v87
	v_add_f16_e32 v105, v83, v72
	s_movk_i32 s5, 0x2de8
	v_add_f16_e32 v86, v69, v86
	v_fma_f16 v88, v105, s5, v117
	v_add_f16_e32 v86, v88, v86
	v_sub_f16_e32 v88, v36, v47
	v_mul_f16_e32 v122, 0xba62, v88
	v_add_f16_e32 v106, v84, v71
	s_mov_b32 s6, 0xb8d2
	v_fma_f16 v89, v106, s6, v122
	v_add_f16_e32 v86, v89, v86
	v_sub_f16_e32 v89, v37, v46
	v_mul_f16_e32 v125, 0xb1e1, v89
	v_add_f16_e32 v108, v81, v74
	s_mov_b32 s7, 0xbbdd
	v_fma_f16 v90, v108, s7, v125
	v_add_f16_e32 v86, v90, v86
	v_sub_f16_e32 v90, v38, v45
	v_mul_f16_e32 v126, 0x3836, v90
	v_add_f16_e32 v109, v82, v73
	v_fma_f16 v91, v109, s16, v126
	v_add_f16_e32 v86, v91, v86
	v_sub_f16_e32 v91, v39, v44
	v_mul_f16_e32 v127, 0x3bb2, v91
	v_add_f16_e32 v110, v79, v76
	s_mov_b32 s19, 0xb461
	v_fma_f16 v92, v110, s19, v127
	v_add_f16_e32 v86, v92, v86
	v_sub_f16_e32 v92, v40, v43
	v_mul_f16_e32 v128, 0x3b29, v92
	v_add_f16_e32 v111, v80, v75
	s_movk_i32 s20, 0x3722
	v_fma_f16 v93, v111, s20, v128
	v_add_f16_e32 v86, v93, v86
	v_sub_f16_e32 v93, v41, v42
	v_mul_f16_e32 v130, 0x35c8, v93
	v_add_f16_e32 v112, v78, v77
	s_movk_i32 s21, 0x3b76
	v_fma_f16 v94, v112, s21, v130
	v_sub_f16_e32 v113, v70, v48
	v_add_f16_e32 v86, v94, v86
	v_add_f16_e32 v94, v33, v34
	v_mul_f16_e32 v131, 0xb964, v113
	v_sub_f16_e32 v115, v72, v83
	v_fma_f16 v95, v94, s4, -v131
	v_add_f16_e32 v96, v32, v35
	v_mul_f16_e32 v132, 0xbbf7, v115
	v_add_f16_e32 v95, v68, v95
	v_fma_f16 v97, v96, s5, -v132
	v_sub_f16_e32 v116, v71, v84
	v_add_f16_e32 v95, v97, v95
	v_add_f16_e32 v97, v47, v36
	v_mul_f16_e32 v133, 0xba62, v116
	v_fma_f16 v98, v97, s6, -v133
	v_sub_f16_e32 v118, v74, v81
	v_add_f16_e32 v95, v98, v95
	v_add_f16_e32 v98, v46, v37
	v_mul_f16_e32 v134, 0xb1e1, v118
	v_fma_f16 v99, v98, s7, -v134
	v_sub_f16_e32 v119, v73, v82
	v_add_f16_e32 v95, v99, v95
	v_add_f16_e32 v99, v45, v38
	v_mul_f16_e32 v135, 0x3836, v119
	v_fma_f16 v100, v99, s16, -v135
	v_sub_f16_e32 v121, v76, v79
	v_add_f16_e32 v95, v100, v95
	v_add_f16_e32 v100, v44, v39
	v_mul_f16_e32 v136, 0x3bb2, v121
	v_fma_f16 v101, v100, s19, -v136
	v_sub_f16_e32 v123, v75, v80
	v_add_f16_e32 v95, v101, v95
	v_add_f16_e32 v101, v43, v40
	v_mul_f16_e32 v138, 0x3b29, v123
	v_fma_f16 v102, v101, s20, -v138
	v_sub_f16_e32 v124, v77, v78
	v_add_f16_e32 v95, v102, v95
	v_add_f16_e32 v102, v42, v41
	v_mul_f16_e32 v139, 0x35c8, v124
	v_fma_f16 v103, v102, s21, -v139
	v_mul_f16_e32 v140, 0xbb29, v85
	v_add_f16_e32 v95, v103, v95
	v_fma_f16 v103, v104, s20, v140
	v_mul_f16_e32 v141, 0xba62, v87
	v_add_f16_e32 v103, v69, v103
	v_fma_f16 v107, v105, s6, v141
	;; [unrolled: 3-line block ×8, first 2 shown]
	v_mul_f16_e32 v148, 0xbb29, v113
	v_add_f16_e32 v103, v107, v103
	v_fma_f16 v107, v94, s20, -v148
	v_mul_f16_e32 v149, 0xba62, v115
	v_add_f16_e32 v107, v68, v107
	v_fma_f16 v120, v96, s6, -v149
	;; [unrolled: 3-line block ×8, first 2 shown]
	v_mul_f16_e32 v156, 0xbbf7, v85
	v_add_f16_e32 v107, v120, v107
	v_fma_f16 v120, v104, s5, v156
	v_mul_f16_e32 v157, 0xb1e1, v87
	v_add_f16_e32 v120, v69, v120
	v_fma_f16 v129, v105, s7, v157
	;; [unrolled: 3-line block ×8, first 2 shown]
	v_mul_f16_e32 v164, 0xbbf7, v113
	v_add_f16_e32 v120, v129, v120
	v_fma_f16 v129, v94, s5, -v164
	v_mul_f16_e32 v165, 0xb1e1, v115
	v_add_f16_e32 v129, v68, v129
	v_fma_f16 v137, v96, s7, -v165
	;; [unrolled: 3-line block ×8, first 2 shown]
	v_mul_f16_e32 v172, 0xbbb2, v85
	v_add_f16_e32 v129, v137, v129
	v_fma_f16 v137, v104, s19, v172
	v_mul_f16_e32 v173, 0x3836, v87
	v_add_f16_e32 v137, v69, v137
	v_fma_f16 v174, v105, s16, v173
	v_add_f16_e32 v137, v174, v137
	v_mul_f16_e32 v174, 0x3964, v88
	v_fma_f16 v175, v106, s4, v174
	v_add_f16_e32 v137, v175, v137
	v_mul_f16_e32 v175, 0xbb29, v89
	;; [unrolled: 3-line block ×7, first 2 shown]
	v_fma_f16 v181, v94, s19, -v180
	v_mul_f16_e32 v182, 0x3836, v115
	v_add_f16_e32 v181, v68, v181
	v_fma_f16 v183, v96, s16, -v182
	v_add_f16_e32 v181, v183, v181
	v_mul_f16_e32 v183, 0x3964, v116
	v_fma_f16 v184, v97, s4, -v183
	v_add_f16_e32 v181, v184, v181
	v_mul_f16_e32 v184, 0xbb29, v118
	;; [unrolled: 3-line block ×7, first 2 shown]
	v_fma_f16 v190, v104, s6, v189
	v_mul_f16_e32 v191, 0x3bb2, v87
	v_add_f16_e32 v190, v69, v190
	v_fma_f16 v192, v105, s19, v191
	v_add_f16_e32 v190, v192, v190
	v_mul_f16_e32 v192, 0xb5c8, v88
	v_fma_f16 v193, v106, s21, v192
	v_add_f16_e32 v190, v193, v190
	v_mul_f16_e32 v193, 0xb836, v89
	;; [unrolled: 3-line block ×7, first 2 shown]
	v_fma_f16 v199, v94, s6, -v198
	v_mul_f16_e32 v200, 0x3bb2, v115
	v_add_f16_e32 v199, v68, v199
	v_fma_f16 v201, v96, s19, -v200
	v_add_f16_e32 v199, v201, v199
	v_mul_f16_e32 v201, 0xb5c8, v116
	v_fma_f16 v202, v97, s21, -v201
	v_add_f16_e32 v199, v202, v199
	v_mul_f16_e32 v202, 0xb836, v118
	;; [unrolled: 3-line block ×7, first 2 shown]
	v_fma_f16 v208, v104, s16, v207
	v_mul_f16_e32 v209, 0x3b29, v87
	v_add_f16_e32 v208, v69, v208
	v_fma_f16 v210, v105, s20, v209
	v_add_f16_e32 v208, v210, v208
	v_mul_f16_e32 v210, 0xbbf7, v88
	v_fma_f16 v211, v106, s5, v210
	v_add_f16_e32 v208, v211, v208
	v_mul_f16_e32 v211, 0x3a62, v89
	;; [unrolled: 3-line block ×7, first 2 shown]
	v_fma_f16 v217, v94, s16, -v216
	v_mul_f16_e32 v218, 0x3b29, v115
	v_add_f16_e32 v217, v68, v217
	v_fma_f16 v219, v96, s20, -v218
	v_add_f16_e32 v217, v219, v217
	v_mul_f16_e32 v219, 0xbbf7, v116
	v_fma_f16 v220, v97, s5, -v219
	v_add_f16_e32 v217, v220, v217
	v_mul_f16_e32 v220, 0x3a62, v118
	;; [unrolled: 3-line block ×6, first 2 shown]
	v_fma_f16 v114, v104, s4, -v114
	v_fma_f16 v225, v102, s19, -v224
	v_add_f16_e32 v114, v69, v114
	v_fma_f16 v117, v105, s5, -v117
	v_add_f16_e32 v217, v225, v217
	v_mul_f16_e32 v225, 0xb1e1, v85
	v_add_f16_e32 v114, v117, v114
	v_fma_f16 v117, v106, s6, -v122
	v_add_f16_e32 v34, v34, v68
	v_fma_f16 v226, v104, s7, v225
	v_mul_f16_e32 v227, 0x35c8, v87
	v_add_f16_e32 v114, v117, v114
	v_fma_f16 v117, v108, s7, -v125
	v_add_f16_e32 v34, v35, v34
	v_add_f16_e32 v226, v69, v226
	v_fma_f16 v228, v105, s21, v227
	v_add_f16_e32 v114, v117, v114
	v_fma_f16 v117, v109, s16, -v126
	v_add_f16_e32 v34, v36, v34
	v_add_f16_e32 v226, v228, v226
	v_mul_f16_e32 v228, 0xb836, v88
	v_add_f16_e32 v114, v117, v114
	v_fma_f16 v117, v110, s19, -v127
	v_add_f16_e32 v34, v37, v34
	v_fma_f16 v229, v106, s16, v228
	v_add_f16_e32 v114, v117, v114
	v_fma_f16 v117, v111, s20, -v128
	v_add_f16_e32 v34, v38, v34
	v_add_f16_e32 v226, v229, v226
	v_mul_f16_e32 v229, 0x3964, v89
	v_add_f16_e32 v114, v117, v114
	v_fma_f16 v117, v112, s21, -v130
	v_add_f16_e32 v34, v39, v34
	v_fma_f16 v230, v108, s4, v229
	v_add_f16_e32 v114, v117, v114
	v_fma_f16 v117, v94, s4, v131
	v_add_f16_e32 v34, v40, v34
	v_add_f16_e32 v226, v230, v226
	v_mul_f16_e32 v230, 0xba62, v90
	v_add_f16_e32 v117, v68, v117
	v_fma_f16 v122, v96, s5, v132
	v_add_f16_e32 v34, v41, v34
	v_fma_f16 v231, v109, s6, v230
	v_add_f16_e32 v117, v122, v117
	v_fma_f16 v122, v97, s6, v133
	v_add_f16_e32 v34, v42, v34
	v_add_f16_e32 v226, v231, v226
	v_mul_f16_e32 v231, 0x3b29, v91
	v_add_f16_e32 v117, v122, v117
	v_fma_f16 v122, v98, s7, v134
	;; [unrolled: 9-line block ×3, first 2 shown]
	v_add_f16_e32 v34, v45, v34
	v_fma_f16 v233, v111, s19, v232
	v_add_f16_e32 v117, v122, v117
	v_fma_f16 v122, v101, s20, v138
	v_add_f16_e32 v34, v46, v34
	s_movk_i32 s28, 0x35c8
	s_mov_b32 s26, 0xb5c8
	v_add_f16_e32 v226, v233, v226
	v_mul_f16_e32 v233, 0x3bf7, v93
	v_fma_f16 v225, v104, s7, -v225
	v_fma_f16 v207, v104, s16, -v207
	;; [unrolled: 1-line block ×6, first 2 shown]
	v_add_f16_e32 v117, v122, v117
	v_fma_f16 v122, v102, s21, v139
	v_mul_f16_e32 v104, 0x3b76, v104
	v_add_f16_e32 v34, v47, v34
	s_mov_b32 s14, 0xb964
	s_movk_i32 s30, 0x3964
	v_fma_f16 v234, v112, s5, v233
	v_add_f16_e32 v225, v69, v225
	v_fma_f16 v227, v105, s21, -v227
	v_add_f16_e32 v207, v69, v207
	v_fma_f16 v209, v105, s20, -v209
	;; [unrolled: 2-line block ×6, first 2 shown]
	v_add_f16_e32 v117, v122, v117
	v_fma_f16 v122, v85, s28, v104
	v_mul_f16_e32 v105, 0x39e9, v105
	v_add_f16_e32 v32, v32, v34
	v_fma_f16 v34, v85, s26, v104
	s_movk_i32 s27, 0x3b29
	s_mov_b32 s23, 0xbb29
	v_add_f16_e32 v226, v234, v226
	v_mul_f16_e32 v234, 0xb1e1, v113
	v_add_f16_e32 v225, v227, v225
	v_fma_f16 v227, v106, s16, -v228
	v_add_f16_e32 v207, v209, v207
	v_fma_f16 v209, v106, s5, -v210
	;; [unrolled: 2-line block ×6, first 2 shown]
	v_add_f16_e32 v122, v69, v122
	v_fma_f16 v125, v87, s30, v105
	v_mul_f16_e32 v106, 0x3722, v106
	v_add_f16_e32 v32, v33, v32
	v_add_f16_e32 v33, v70, v69
	;; [unrolled: 1-line block ×3, first 2 shown]
	v_fma_f16 v35, v87, s14, v105
	s_mov_b32 s15, 0xbbf7
	s_movk_i32 s34, 0x3bf7
	v_fma_f16 v235, v94, s7, -v234
	v_mul_f16_e32 v236, 0x35c8, v115
	v_add_f16_e32 v225, v227, v225
	v_fma_f16 v227, v108, s4, -v229
	v_add_f16_e32 v207, v209, v207
	v_fma_f16 v209, v108, s6, -v211
	;; [unrolled: 2-line block ×6, first 2 shown]
	v_add_f16_e32 v122, v125, v122
	v_fma_f16 v125, v88, s27, v106
	v_mul_f16_e32 v108, 0x2de8, v108
	v_add_f16_e32 v33, v72, v33
	v_add_f16_e32 v34, v35, v34
	v_fma_f16 v35, v88, s23, v106
	s_movk_i32 s24, 0x3bb2
	s_mov_b32 s31, 0xbbb2
	v_add_f16_e32 v235, v68, v235
	v_fma_f16 v237, v96, s21, -v236
	v_add_f16_e32 v225, v227, v225
	v_fma_f16 v227, v109, s6, -v230
	;; [unrolled: 2-line block ×7, first 2 shown]
	v_add_f16_e32 v122, v125, v122
	v_fma_f16 v125, v89, s34, v108
	v_mul_f16_e32 v109, 0xb461, v109
	v_add_f16_e32 v33, v71, v33
	v_add_f16_e32 v34, v35, v34
	v_fma_f16 v35, v89, s15, v108
	s_mov_b32 s17, 0xba62
	s_movk_i32 s33, 0x3a62
	v_add_f16_e32 v235, v237, v235
	v_mul_f16_e32 v237, 0xb836, v116
	v_add_f16_e32 v225, v227, v225
	v_fma_f16 v227, v110, s20, -v231
	v_add_f16_e32 v207, v209, v207
	v_fma_f16 v209, v110, s7, -v213
	;; [unrolled: 2-line block ×6, first 2 shown]
	v_add_f16_e32 v122, v125, v122
	v_fma_f16 v125, v90, s24, v109
	v_mul_f16_e32 v110, 0xb8d2, v110
	v_add_f16_e32 v33, v74, v33
	v_add_f16_e32 v34, v35, v34
	v_fma_f16 v35, v90, s31, v109
	s_movk_i32 s22, 0x3836
	s_mov_b32 s25, 0xb836
	v_fma_f16 v238, v97, s16, -v237
	v_add_f16_e32 v225, v227, v225
	v_fma_f16 v227, v111, s19, -v232
	v_add_f16_e32 v207, v209, v207
	;; [unrolled: 2-line block ×7, first 2 shown]
	v_fma_f16 v125, v91, s33, v110
	v_mul_f16_e32 v111, 0xbacd, v111
	v_add_f16_e32 v33, v73, v33
	v_add_f16_e32 v34, v35, v34
	v_fma_f16 v35, v91, s17, v110
	s_mov_b32 s18, 0xb1e1
	s_movk_i32 s29, 0x31e1
	v_add_f16_e32 v235, v238, v235
	v_mul_f16_e32 v238, 0x3964, v118
	v_add_f16_e32 v225, v227, v225
	v_fma_f16 v227, v112, s5, -v233
	v_add_f16_e32 v207, v209, v207
	v_fma_f16 v209, v112, s19, -v215
	;; [unrolled: 2-line block ×6, first 2 shown]
	v_add_f16_e32 v122, v125, v122
	v_fma_f16 v125, v92, s22, v111
	v_mul_f16_e32 v112, 0xbbdd, v112
	v_add_f16_e32 v33, v76, v33
	v_add_f16_e32 v34, v35, v34
	v_fma_f16 v35, v92, s25, v111
	v_fma_f16 v239, v98, s4, -v238
	v_add_f16_e32 v122, v125, v122
	v_fma_f16 v125, v93, s29, v112
	v_mul_f16_e32 v113, 0xb5c8, v113
	v_add_f16_e32 v33, v75, v33
	v_add_f16_e32 v34, v35, v34
	v_fma_f16 v35, v93, s18, v112
	v_add_f16_e32 v235, v239, v235
	v_mul_f16_e32 v239, 0xba62, v119
	v_add_f16_e32 v122, v125, v122
	v_fma_f16 v125, v94, s21, v113
	v_mul_f16_e32 v115, 0xb964, v115
	v_add_f16_e32 v33, v77, v33
	v_add_f16_e32 v34, v35, v34
	v_fma_f16 v35, v94, s21, -v113
	v_fma_f16 v240, v99, s6, -v239
	v_add_f16_e32 v140, v141, v140
	v_fma_f16 v141, v94, s20, v148
	v_add_f16_e32 v125, v68, v125
	v_fma_f16 v126, v96, s4, v115
	v_mul_f16_e32 v116, 0xbb29, v116
	v_add_f16_e32 v33, v78, v33
	v_add_f16_e32 v35, v68, v35
	v_fma_f16 v36, v96, s4, -v115
	v_add_f16_e32 v235, v240, v235
	v_mul_f16_e32 v240, 0x3b29, v121
	v_add_f16_e32 v172, v173, v172
	v_fma_f16 v173, v94, s19, v180
	v_add_f16_e32 v156, v157, v156
	v_fma_f16 v157, v94, s5, v164
	;; [unrolled: 2-line block ×4, first 2 shown]
	v_mul_f16_e32 v118, 0xbbf7, v118
	v_add_f16_e32 v33, v80, v33
	v_add_f16_e32 v35, v36, v35
	v_fma_f16 v36, v97, s20, -v116
	v_fma_f16 v241, v100, s20, -v240
	v_add_f16_e32 v207, v209, v207
	v_fma_f16 v209, v94, s16, v216
	v_add_f16_e32 v189, v191, v189
	v_fma_f16 v191, v94, s6, v198
	;; [unrolled: 2-line block ×6, first 2 shown]
	v_mul_f16_e32 v119, 0xbbb2, v119
	v_add_f16_e32 v33, v79, v33
	v_add_f16_e32 v35, v36, v35
	v_fma_f16 v36, v98, s5, -v118
	v_add_f16_e32 v235, v241, v235
	v_mul_f16_e32 v241, 0xbbb2, v123
	v_add_f16_e32 v225, v227, v225
	v_fma_f16 v227, v94, s7, v234
	v_add_f16_e32 v209, v68, v209
	v_fma_f16 v210, v96, s20, v218
	v_add_f16_e32 v191, v68, v191
	v_fma_f16 v192, v96, s19, v200
	v_add_f16_e32 v173, v174, v173
	v_fma_f16 v174, v97, s4, v183
	v_add_f16_e32 v157, v158, v157
	v_fma_f16 v158, v97, s19, v166
	v_add_f16_e32 v141, v142, v141
	v_fma_f16 v142, v98, s19, v151
	v_add_f16_e32 v125, v126, v125
	v_fma_f16 v126, v99, s19, v119
	v_mul_f16_e32 v121, 0xba62, v121
	v_add_f16_e32 v33, v82, v33
	v_add_f16_e32 v35, v36, v35
	v_fma_f16 v36, v99, s19, -v119
	v_fma_f16 v242, v101, s19, -v241
	v_add_f16_e32 v227, v68, v227
	v_fma_f16 v228, v96, s21, v236
	v_add_f16_e32 v209, v210, v209
	v_fma_f16 v210, v97, s5, v219
	;; [unrolled: 2-line block ×7, first 2 shown]
	v_mul_f16_e32 v123, 0xb836, v123
	v_add_f16_e32 v33, v81, v33
	v_add_f16_e32 v35, v36, v35
	v_fma_f16 v36, v100, s6, -v121
	v_add_f16_e32 v235, v242, v235
	v_mul_f16_e32 v242, 0x3bf7, v124
	v_add_f16_e32 v227, v228, v227
	v_fma_f16 v228, v97, s16, v237
	v_add_f16_e32 v209, v210, v209
	v_fma_f16 v210, v98, s6, v220
	;; [unrolled: 2-line block ×7, first 2 shown]
	v_mul_f16_e32 v124, 0xb1e1, v124
	v_add_f16_e32 v33, v84, v33
	v_add_f16_e32 v35, v36, v35
	v_fma_f16 v36, v101, s16, -v123
	v_add_f16_e32 v227, v228, v227
	v_fma_f16 v228, v98, s4, v238
	v_add_f16_e32 v209, v210, v209
	v_fma_f16 v210, v99, s21, v221
	;; [unrolled: 2-line block ×7, first 2 shown]
	v_add_f16_e32 v33, v83, v33
	v_add_f16_e32 v35, v36, v35
	v_fma_f16 v36, v102, s7, -v124
	v_add_f16_e32 v227, v228, v227
	v_fma_f16 v228, v99, s6, v239
	v_add_f16_e32 v209, v210, v209
	v_fma_f16 v210, v100, s7, v222
	v_add_f16_e32 v191, v192, v191
	v_fma_f16 v192, v100, s4, v204
	v_add_f16_e32 v173, v174, v173
	v_fma_f16 v174, v101, s21, v187
	v_add_f16_e32 v157, v158, v157
	v_fma_f16 v158, v101, s6, v170
	v_add_f16_e32 v141, v142, v141
	v_fma_f16 v142, v102, s16, v155
	v_add_f16_e32 v125, v126, v125
	v_add_f16_e32 v33, v48, v33
	;; [unrolled: 1-line block ×3, first 2 shown]
	v_mul_lo_u16_e32 v36, 17, v28
	v_add_f16_e32 v227, v228, v227
	v_fma_f16 v228, v100, s20, v240
	v_add_f16_e32 v209, v210, v209
	v_fma_f16 v210, v101, s4, v223
	;; [unrolled: 2-line block ×5, first 2 shown]
	v_add_f16_e32 v141, v142, v141
	v_lshl_add_u32 v31, v36, 2, v31
	v_pack_b32_f16 v36, v125, v122
	v_pack_b32_f16 v32, v32, v33
	v_add_f16_e32 v227, v228, v227
	v_fma_f16 v228, v101, s19, v241
	v_add_f16_e32 v209, v210, v209
	v_fma_f16 v210, v102, s19, v224
	v_add_f16_e32 v191, v192, v191
	v_fma_f16 v192, v102, s20, v206
	v_add_f16_e32 v173, v174, v173
	v_add_f16_e32 v157, v158, v157
	ds_write2_b32 v31, v32, v36 offset1:1
	v_pack_b32_f16 v32, v141, v140
	v_pack_b32_f16 v33, v117, v114
	v_fma_f16 v243, v102, s5, -v242
	v_add_f16_e32 v227, v228, v227
	v_fma_f16 v228, v102, s5, v242
	v_add_f16_e32 v209, v210, v209
	v_add_f16_e32 v191, v192, v191
	ds_write2_b32 v31, v33, v32 offset0:2 offset1:3
	v_pack_b32_f16 v32, v173, v172
	v_pack_b32_f16 v33, v157, v156
	v_add_f16_e32 v235, v243, v235
	v_add_f16_e32 v227, v228, v227
	ds_write2_b32 v31, v33, v32 offset0:4 offset1:5
	v_pack_b32_f16 v32, v209, v207
	v_pack_b32_f16 v33, v191, v189
	ds_write2_b32 v31, v33, v32 offset0:6 offset1:7
	v_pack_b32_f16 v32, v235, v226
	v_pack_b32_f16 v33, v227, v225
	;; [unrolled: 3-line block ×5, first 2 shown]
	ds_write2_b32 v31, v33, v32 offset0:14 offset1:15
	v_pack_b32_f16 v32, v35, v34
	ds_write_b32 v31, v32 offset:64
.LBB0_13:
	s_or_b64 exec, exec, s[0:1]
	v_add_u32_e32 v31, 0x400, v3
	s_waitcnt lgkmcnt(0)
	s_barrier
	ds_read2_b32 v[36:37], v31 offset0:16 offset1:84
	v_add_u32_e32 v33, 0x800, v3
	ds_read2_b32 v[38:39], v33 offset0:32 offset1:100
	v_add_u32_e32 v32, 0xc00, v3
	ds_read2_b32 v[40:41], v32 offset0:48 offset1:116
	s_waitcnt lgkmcnt(2)
	v_lshrrev_b32_e32 v70, 16, v36
	v_mul_f16_sdwa v85, v4, v70 dst_sel:DWORD dst_unused:UNUSED_PAD src0_sel:WORD_1 src1_sel:DWORD
	s_waitcnt lgkmcnt(1)
	v_lshrrev_b32_e32 v71, 16, v38
	v_fma_f16 v85, v4, v36, v85
	v_mul_f16_sdwa v36, v4, v36 dst_sel:DWORD dst_unused:UNUSED_PAD src0_sel:WORD_1 src1_sel:DWORD
	v_fma_f16 v4, v4, v70, -v36
	v_mul_f16_sdwa v36, v5, v71 dst_sel:DWORD dst_unused:UNUSED_PAD src0_sel:WORD_1 src1_sel:DWORD
	s_waitcnt lgkmcnt(0)
	v_lshrrev_b32_e32 v72, 16, v40
	v_fma_f16 v36, v5, v38, v36
	v_mul_f16_sdwa v38, v5, v38 dst_sel:DWORD dst_unused:UNUSED_PAD src0_sel:WORD_1 src1_sel:DWORD
	v_fma_f16 v5, v5, v71, -v38
	v_mul_f16_sdwa v38, v6, v72 dst_sel:DWORD dst_unused:UNUSED_PAD src0_sel:WORD_1 src1_sel:DWORD
	v_lshrrev_b32_e32 v74, 16, v37
	v_fma_f16 v38, v6, v40, v38
	v_mul_f16_sdwa v40, v6, v40 dst_sel:DWORD dst_unused:UNUSED_PAD src0_sel:WORD_1 src1_sel:DWORD
	v_fma_f16 v6, v6, v72, -v40
	v_mul_f16_sdwa v40, v0, v74 dst_sel:DWORD dst_unused:UNUSED_PAD src0_sel:WORD_1 src1_sel:DWORD
	v_lshrrev_b32_e32 v75, 16, v39
	v_fma_f16 v40, v0, v37, v40
	v_mul_f16_sdwa v37, v0, v37 dst_sel:DWORD dst_unused:UNUSED_PAD src0_sel:WORD_1 src1_sel:DWORD
	ds_read2_b32 v[34:35], v3 offset1:68
	ds_read2_b32 v[42:43], v3 offset0:136 offset1:204
	ds_read2_b32 v[44:45], v31 offset0:152 offset1:220
	;; [unrolled: 1-line block ×4, first 2 shown]
	v_fma_f16 v0, v0, v74, -v37
	v_mul_f16_sdwa v37, v1, v75 dst_sel:DWORD dst_unused:UNUSED_PAD src0_sel:WORD_1 src1_sel:DWORD
	v_lshrrev_b32_e32 v76, 16, v41
	v_fma_f16 v37, v1, v39, v37
	v_mul_f16_sdwa v39, v1, v39 dst_sel:DWORD dst_unused:UNUSED_PAD src0_sel:WORD_1 src1_sel:DWORD
	v_fma_f16 v1, v1, v75, -v39
	v_mul_f16_sdwa v39, v2, v76 dst_sel:DWORD dst_unused:UNUSED_PAD src0_sel:WORD_1 src1_sel:DWORD
	s_waitcnt lgkmcnt(2)
	v_lshrrev_b32_e32 v78, 16, v44
	v_fma_f16 v39, v2, v41, v39
	v_mul_f16_sdwa v41, v2, v41 dst_sel:DWORD dst_unused:UNUSED_PAD src0_sel:WORD_1 src1_sel:DWORD
	v_fma_f16 v2, v2, v76, -v41
	v_mul_f16_sdwa v41, v8, v78 dst_sel:DWORD dst_unused:UNUSED_PAD src0_sel:WORD_1 src1_sel:DWORD
	s_waitcnt lgkmcnt(1)
	;; [unrolled: 6-line block ×3, first 2 shown]
	v_lshrrev_b32_e32 v80, 16, v68
	v_fma_f16 v44, v9, v46, v44
	v_mul_f16_sdwa v46, v9, v46 dst_sel:DWORD dst_unused:UNUSED_PAD src0_sel:WORD_1 src1_sel:DWORD
	v_fma_f16 v9, v9, v79, -v46
	v_mul_f16_sdwa v46, v10, v80 dst_sel:DWORD dst_unused:UNUSED_PAD src0_sel:WORD_1 src1_sel:DWORD
	v_lshrrev_b32_e32 v82, 16, v45
	v_fma_f16 v46, v10, v68, v46
	v_mul_f16_sdwa v68, v10, v68 dst_sel:DWORD dst_unused:UNUSED_PAD src0_sel:WORD_1 src1_sel:DWORD
	v_fma_f16 v10, v10, v80, -v68
	v_mul_f16_sdwa v68, v12, v82 dst_sel:DWORD dst_unused:UNUSED_PAD src0_sel:WORD_1 src1_sel:DWORD
	;; [unrolled: 5-line block ×3, first 2 shown]
	v_lshrrev_b32_e32 v84, 16, v69
	v_fma_f16 v45, v13, v47, v45
	v_mul_f16_sdwa v47, v13, v47 dst_sel:DWORD dst_unused:UNUSED_PAD src0_sel:WORD_1 src1_sel:DWORD
	v_lshrrev_b32_e32 v48, 16, v34
	v_fma_f16 v13, v13, v83, -v47
	v_mul_f16_sdwa v47, v14, v84 dst_sel:DWORD dst_unused:UNUSED_PAD src0_sel:WORD_1 src1_sel:DWORD
	v_fma_f16 v47, v14, v69, v47
	v_mul_f16_sdwa v69, v14, v69 dst_sel:DWORD dst_unused:UNUSED_PAD src0_sel:WORD_1 src1_sel:DWORD
	v_sub_f16_e32 v36, v34, v36
	v_sub_f16_e32 v5, v48, v5
	;; [unrolled: 1-line block ×4, first 2 shown]
	v_lshrrev_b32_e32 v73, 16, v35
	v_fma_f16 v14, v14, v84, -v69
	v_fma_f16 v34, v34, 2.0, -v36
	v_fma_f16 v48, v48, 2.0, -v5
	;; [unrolled: 1-line block ×4, first 2 shown]
	v_sub_f16_e32 v69, v34, v69
	v_sub_f16_e32 v4, v48, v4
	v_add_f16_e32 v6, v36, v6
	v_sub_f16_e32 v38, v5, v38
	v_sub_f16_e32 v37, v35, v37
	;; [unrolled: 1-line block ×5, first 2 shown]
	v_lshrrev_b32_e32 v77, 16, v42
	v_fma_f16 v34, v34, 2.0, -v69
	v_fma_f16 v48, v48, 2.0, -v4
	;; [unrolled: 1-line block ×8, first 2 shown]
	v_sub_f16_e32 v40, v35, v40
	v_sub_f16_e32 v0, v70, v0
	v_add_f16_e32 v2, v37, v2
	v_sub_f16_e32 v39, v1, v39
	v_sub_f16_e32 v44, v42, v44
	;; [unrolled: 1-line block ×5, first 2 shown]
	v_pack_b32_f16 v34, v34, v48
	v_pack_b32_f16 v5, v36, v5
	v_lshrrev_b32_e32 v81, 16, v43
	v_fma_f16 v35, v35, 2.0, -v40
	v_fma_f16 v70, v70, 2.0, -v0
	;; [unrolled: 1-line block ×8, first 2 shown]
	s_barrier
	ds_write2_b32 v11, v34, v5 offset1:17
	v_pack_b32_f16 v4, v69, v4
	v_pack_b32_f16 v5, v6, v38
	v_sub_f16_e32 v41, v42, v41
	v_sub_f16_e32 v8, v71, v8
	v_add_f16_e32 v10, v44, v10
	v_sub_f16_e32 v46, v9, v46
	v_sub_f16_e32 v45, v43, v45
	;; [unrolled: 1-line block ×5, first 2 shown]
	ds_write2_b32 v11, v4, v5 offset0:34 offset1:51
	v_pack_b32_f16 v4, v35, v70
	v_pack_b32_f16 v1, v37, v1
	v_fma_f16 v42, v42, 2.0, -v41
	v_fma_f16 v71, v71, 2.0, -v8
	;; [unrolled: 1-line block ×8, first 2 shown]
	ds_write2_b32 v15, v4, v1 offset1:17
	v_pack_b32_f16 v0, v40, v0
	v_pack_b32_f16 v1, v2, v39
	v_sub_f16_e32 v68, v43, v68
	v_sub_f16_e32 v12, v72, v12
	v_add_f16_e32 v14, v45, v14
	v_sub_f16_e32 v47, v13, v47
	ds_write2_b32 v15, v0, v1 offset0:34 offset1:51
	v_pack_b32_f16 v0, v42, v71
	v_pack_b32_f16 v1, v44, v9
	v_fma_f16 v43, v43, 2.0, -v68
	v_fma_f16 v72, v72, 2.0, -v12
	;; [unrolled: 1-line block ×4, first 2 shown]
	ds_write2_b32 v49, v0, v1 offset1:17
	v_pack_b32_f16 v0, v41, v8
	v_pack_b32_f16 v1, v10, v46
	ds_write2_b32 v49, v0, v1 offset0:34 offset1:51
	v_pack_b32_f16 v0, v43, v72
	v_pack_b32_f16 v1, v45, v13
	ds_write2_b32 v50, v0, v1 offset1:17
	v_pack_b32_f16 v0, v68, v12
	v_pack_b32_f16 v1, v14, v47
	ds_write2_b32 v50, v0, v1 offset0:34 offset1:51
	s_waitcnt lgkmcnt(0)
	s_barrier
	ds_read2_b32 v[0:1], v3 offset1:68
	ds_read2_b32 v[4:5], v31 offset0:16 offset1:84
	ds_read2_b32 v[8:9], v33 offset0:32 offset1:100
	;; [unrolled: 1-line block ×7, first 2 shown]
	s_waitcnt lgkmcnt(7)
	v_lshrrev_b32_e32 v2, 16, v0
	s_waitcnt lgkmcnt(6)
	v_lshrrev_b32_e32 v6, 16, v4
	v_mul_f16_sdwa v69, v16, v6 dst_sel:DWORD dst_unused:UNUSED_PAD src0_sel:WORD_1 src1_sel:DWORD
	s_waitcnt lgkmcnt(5)
	v_lshrrev_b32_e32 v38, 16, v8
	v_fma_f16 v69, v16, v4, v69
	v_mul_f16_sdwa v4, v16, v4 dst_sel:DWORD dst_unused:UNUSED_PAD src0_sel:WORD_1 src1_sel:DWORD
	v_fma_f16 v4, v16, v6, -v4
	v_mul_f16_sdwa v6, v17, v38 dst_sel:DWORD dst_unused:UNUSED_PAD src0_sel:WORD_1 src1_sel:DWORD
	s_waitcnt lgkmcnt(4)
	v_lshrrev_b32_e32 v39, 16, v10
	v_fma_f16 v6, v17, v8, v6
	v_mul_f16_sdwa v8, v17, v8 dst_sel:DWORD dst_unused:UNUSED_PAD src0_sel:WORD_1 src1_sel:DWORD
	v_fma_f16 v8, v17, v38, -v8
	v_mul_f16_sdwa v38, v18, v39 dst_sel:DWORD dst_unused:UNUSED_PAD src0_sel:WORD_1 src1_sel:DWORD
	v_lshrrev_b32_e32 v41, 16, v5
	v_fma_f16 v38, v18, v10, v38
	v_mul_f16_sdwa v10, v18, v10 dst_sel:DWORD dst_unused:UNUSED_PAD src0_sel:WORD_1 src1_sel:DWORD
	v_fma_f16 v10, v18, v39, -v10
	v_mul_f16_sdwa v39, v16, v41 dst_sel:DWORD dst_unused:UNUSED_PAD src0_sel:WORD_1 src1_sel:DWORD
	v_lshrrev_b32_e32 v42, 16, v9
	v_fma_f16 v39, v16, v5, v39
	v_mul_f16_sdwa v5, v16, v5 dst_sel:DWORD dst_unused:UNUSED_PAD src0_sel:WORD_1 src1_sel:DWORD
	v_fma_f16 v5, v16, v41, -v5
	v_mul_f16_sdwa v16, v17, v42 dst_sel:DWORD dst_unused:UNUSED_PAD src0_sel:WORD_1 src1_sel:DWORD
	v_lshrrev_b32_e32 v43, 16, v11
	v_fma_f16 v16, v17, v9, v16
	v_mul_f16_sdwa v9, v17, v9 dst_sel:DWORD dst_unused:UNUSED_PAD src0_sel:WORD_1 src1_sel:DWORD
	v_fma_f16 v9, v17, v42, -v9
	v_mul_f16_sdwa v17, v18, v43 dst_sel:DWORD dst_unused:UNUSED_PAD src0_sel:WORD_1 src1_sel:DWORD
	s_waitcnt lgkmcnt(2)
	v_lshrrev_b32_e32 v45, 16, v14
	v_fma_f16 v17, v18, v11, v17
	v_mul_f16_sdwa v11, v18, v11 dst_sel:DWORD dst_unused:UNUSED_PAD src0_sel:WORD_1 src1_sel:DWORD
	v_fma_f16 v11, v18, v43, -v11
	v_mul_f16_sdwa v18, v20, v45 dst_sel:DWORD dst_unused:UNUSED_PAD src0_sel:WORD_1 src1_sel:DWORD
	s_waitcnt lgkmcnt(1)
	v_lshrrev_b32_e32 v46, 16, v34
	v_fma_f16 v18, v20, v14, v18
	v_mul_f16_sdwa v14, v20, v14 dst_sel:DWORD dst_unused:UNUSED_PAD src0_sel:WORD_1 src1_sel:DWORD
	v_fma_f16 v14, v20, v45, -v14
	v_mul_f16_sdwa v20, v21, v46 dst_sel:DWORD dst_unused:UNUSED_PAD src0_sel:WORD_1 src1_sel:DWORD
	;; [unrolled: 6-line block ×3, first 2 shown]
	v_lshrrev_b32_e32 v49, 16, v15
	v_fma_f16 v34, v22, v36, v34
	v_mul_f16_sdwa v36, v22, v36 dst_sel:DWORD dst_unused:UNUSED_PAD src0_sel:WORD_1 src1_sel:DWORD
	v_fma_f16 v22, v22, v47, -v36
	v_mul_f16_sdwa v36, v24, v49 dst_sel:DWORD dst_unused:UNUSED_PAD src0_sel:WORD_1 src1_sel:DWORD
	v_lshrrev_b32_e32 v50, 16, v35
	v_fma_f16 v36, v24, v15, v36
	v_mul_f16_sdwa v15, v24, v15 dst_sel:DWORD dst_unused:UNUSED_PAD src0_sel:WORD_1 src1_sel:DWORD
	v_fma_f16 v15, v24, v49, -v15
	v_mul_f16_sdwa v24, v25, v50 dst_sel:DWORD dst_unused:UNUSED_PAD src0_sel:WORD_1 src1_sel:DWORD
	v_lshrrev_b32_e32 v68, 16, v37
	v_fma_f16 v24, v25, v35, v24
	v_mul_f16_sdwa v35, v25, v35 dst_sel:DWORD dst_unused:UNUSED_PAD src0_sel:WORD_1 src1_sel:DWORD
	v_fma_f16 v25, v25, v50, -v35
	v_mul_f16_sdwa v35, v26, v68 dst_sel:DWORD dst_unused:UNUSED_PAD src0_sel:WORD_1 src1_sel:DWORD
	v_fma_f16 v35, v26, v37, v35
	v_mul_f16_sdwa v37, v26, v37 dst_sel:DWORD dst_unused:UNUSED_PAD src0_sel:WORD_1 src1_sel:DWORD
	v_fma_f16 v26, v26, v68, -v37
	v_sub_f16_e32 v6, v0, v6
	v_sub_f16_e32 v8, v2, v8
	;; [unrolled: 1-line block ×4, first 2 shown]
	v_lshrrev_b32_e32 v40, 16, v1
	v_fma_f16 v0, v0, 2.0, -v6
	v_fma_f16 v2, v2, 2.0, -v8
	;; [unrolled: 1-line block ×4, first 2 shown]
	v_sub_f16_e32 v38, v0, v38
	v_sub_f16_e32 v4, v2, v4
	v_add_f16_e32 v10, v6, v10
	v_sub_f16_e32 v37, v8, v37
	v_sub_f16_e32 v16, v1, v16
	;; [unrolled: 1-line block ×5, first 2 shown]
	v_lshrrev_b32_e32 v44, 16, v12
	v_fma_f16 v0, v0, 2.0, -v38
	v_fma_f16 v2, v2, 2.0, -v4
	;; [unrolled: 1-line block ×8, first 2 shown]
	v_sub_f16_e32 v39, v1, v39
	v_sub_f16_e32 v5, v40, v5
	v_add_f16_e32 v11, v16, v11
	v_sub_f16_e32 v17, v9, v17
	v_sub_f16_e32 v20, v12, v20
	;; [unrolled: 1-line block ×5, first 2 shown]
	v_pack_b32_f16 v0, v0, v2
	v_pack_b32_f16 v2, v6, v8
	v_lshrrev_b32_e32 v48, 16, v13
	v_fma_f16 v1, v1, 2.0, -v39
	v_fma_f16 v40, v40, 2.0, -v5
	;; [unrolled: 1-line block ×8, first 2 shown]
	s_barrier
	ds_write2_b32 v3, v0, v2 offset1:68
	v_pack_b32_f16 v0, v38, v4
	v_pack_b32_f16 v2, v10, v37
	v_sub_f16_e32 v18, v12, v18
	v_sub_f16_e32 v14, v41, v14
	v_add_f16_e32 v22, v20, v22
	v_sub_f16_e32 v34, v21, v34
	v_sub_f16_e32 v24, v13, v24
	;; [unrolled: 1-line block ×5, first 2 shown]
	ds_write2_b32 v3, v0, v2 offset0:136 offset1:204
	v_pack_b32_f16 v0, v1, v40
	v_pack_b32_f16 v1, v16, v9
	v_fma_f16 v12, v12, 2.0, -v18
	v_fma_f16 v41, v41, 2.0, -v14
	;; [unrolled: 1-line block ×8, first 2 shown]
	ds_write2_b32 v31, v0, v1 offset0:16 offset1:84
	v_pack_b32_f16 v0, v39, v5
	v_pack_b32_f16 v1, v11, v17
	v_sub_f16_e32 v36, v13, v36
	v_sub_f16_e32 v15, v42, v15
	v_add_f16_e32 v26, v24, v26
	v_sub_f16_e32 v35, v25, v35
	ds_write2_b32 v31, v0, v1 offset0:152 offset1:220
	v_pack_b32_f16 v0, v12, v41
	v_pack_b32_f16 v1, v20, v21
	v_add_u32_e32 v2, 0x800, v55
	v_fma_f16 v13, v13, 2.0, -v36
	v_fma_f16 v42, v42, 2.0, -v15
	;; [unrolled: 1-line block ×4, first 2 shown]
	ds_write2_b32 v2, v0, v1 offset0:32 offset1:100
	v_pack_b32_f16 v0, v18, v14
	v_pack_b32_f16 v1, v22, v34
	ds_write2_b32 v2, v0, v1 offset0:168 offset1:236
	v_pack_b32_f16 v0, v13, v42
	v_pack_b32_f16 v1, v24, v25
	v_add_u32_e32 v2, 0xc00, v56
	ds_write2_b32 v2, v0, v1 offset0:48 offset1:116
	v_pack_b32_f16 v0, v36, v15
	v_pack_b32_f16 v1, v26, v35
	ds_write2_b32 v2, v0, v1 offset0:184 offset1:252
	s_waitcnt lgkmcnt(0)
	s_barrier
	ds_read2_b32 v[0:1], v3 offset1:68
	ds_read2_b32 v[4:5], v33 offset0:32 offset1:100
	ds_read2_b32 v[10:11], v33 offset0:168 offset1:236
	;; [unrolled: 1-line block ×5, first 2 shown]
	s_waitcnt lgkmcnt(4)
	v_lshrrev_b32_e32 v6, 16, v4
	v_mul_f16_sdwa v43, v51, v6 dst_sel:DWORD dst_unused:UNUSED_PAD src0_sel:WORD_1 src1_sel:DWORD
	v_lshrrev_b32_e32 v22, 16, v5
	v_fma_f16 v43, v51, v4, v43
	v_mul_f16_sdwa v4, v51, v4 dst_sel:DWORD dst_unused:UNUSED_PAD src0_sel:WORD_1 src1_sel:DWORD
	v_fma_f16 v4, v51, v6, -v4
	v_mul_f16_sdwa v6, v52, v22 dst_sel:DWORD dst_unused:UNUSED_PAD src0_sel:WORD_1 src1_sel:DWORD
	s_waitcnt lgkmcnt(3)
	v_lshrrev_b32_e32 v25, 16, v10
	v_fma_f16 v6, v52, v5, v6
	v_mul_f16_sdwa v5, v52, v5 dst_sel:DWORD dst_unused:UNUSED_PAD src0_sel:WORD_1 src1_sel:DWORD
	v_fma_f16 v5, v52, v22, -v5
	v_mul_f16_sdwa v22, v53, v25 dst_sel:DWORD dst_unused:UNUSED_PAD src0_sel:WORD_1 src1_sel:DWORD
	v_lshrrev_b32_e32 v34, 16, v11
	v_fma_f16 v22, v53, v10, v22
	v_mul_f16_sdwa v10, v53, v10 dst_sel:DWORD dst_unused:UNUSED_PAD src0_sel:WORD_1 src1_sel:DWORD
	ds_read2_b32 v[16:17], v31 offset0:152 offset1:220
	ds_read2_b32 v[20:21], v32 offset0:184 offset1:252
	v_fma_f16 v10, v53, v25, -v10
	v_mul_f16_sdwa v25, v54, v34 dst_sel:DWORD dst_unused:UNUSED_PAD src0_sel:WORD_1 src1_sel:DWORD
	s_waitcnt lgkmcnt(4)
	v_lshrrev_b32_e32 v36, 16, v14
	v_fma_f16 v25, v54, v11, v25
	v_mul_f16_sdwa v11, v54, v11 dst_sel:DWORD dst_unused:UNUSED_PAD src0_sel:WORD_1 src1_sel:DWORD
	v_fma_f16 v11, v54, v34, -v11
	v_mul_f16_sdwa v34, v51, v36 dst_sel:DWORD dst_unused:UNUSED_PAD src0_sel:WORD_1 src1_sel:DWORD
	v_lshrrev_b32_e32 v38, 16, v15
	v_fma_f16 v34, v51, v14, v34
	v_mul_f16_sdwa v14, v51, v14 dst_sel:DWORD dst_unused:UNUSED_PAD src0_sel:WORD_1 src1_sel:DWORD
	v_fma_f16 v14, v51, v36, -v14
	v_mul_f16_sdwa v36, v52, v38 dst_sel:DWORD dst_unused:UNUSED_PAD src0_sel:WORD_1 src1_sel:DWORD
	s_waitcnt lgkmcnt(0)
	v_lshrrev_b32_e32 v40, 16, v20
	v_fma_f16 v36, v52, v15, v36
	v_mul_f16_sdwa v15, v52, v15 dst_sel:DWORD dst_unused:UNUSED_PAD src0_sel:WORD_1 src1_sel:DWORD
	v_fma_f16 v15, v52, v38, -v15
	v_mul_f16_sdwa v38, v53, v40 dst_sel:DWORD dst_unused:UNUSED_PAD src0_sel:WORD_1 src1_sel:DWORD
	v_lshrrev_b32_e32 v42, 16, v21
	v_fma_f16 v38, v53, v20, v38
	v_mul_f16_sdwa v20, v53, v20 dst_sel:DWORD dst_unused:UNUSED_PAD src0_sel:WORD_1 src1_sel:DWORD
	v_fma_f16 v20, v53, v40, -v20
	v_mul_f16_sdwa v40, v54, v42 dst_sel:DWORD dst_unused:UNUSED_PAD src0_sel:WORD_1 src1_sel:DWORD
	v_lshrrev_b32_e32 v2, 16, v0
	v_lshrrev_b32_e32 v18, 16, v1
	v_fma_f16 v40, v54, v21, v40
	v_mul_f16_sdwa v21, v54, v21 dst_sel:DWORD dst_unused:UNUSED_PAD src0_sel:WORD_1 src1_sel:DWORD
	v_fma_f16 v21, v54, v42, -v21
	v_sub_f16_e32 v42, v0, v43
	v_sub_f16_e32 v4, v2, v4
	;; [unrolled: 1-line block ×4, first 2 shown]
	v_lshrrev_b32_e32 v24, 16, v8
	v_lshrrev_b32_e32 v26, 16, v9
	v_fma_f16 v0, v0, 2.0, -v42
	v_fma_f16 v2, v2, 2.0, -v4
	;; [unrolled: 1-line block ×4, first 2 shown]
	v_sub_f16_e32 v22, v8, v22
	v_sub_f16_e32 v10, v24, v10
	v_sub_f16_e32 v25, v9, v25
	v_sub_f16_e32 v11, v26, v11
	v_pack_b32_f16 v0, v0, v2
	v_pack_b32_f16 v1, v1, v18
	v_lshrrev_b32_e32 v35, 16, v12
	v_lshrrev_b32_e32 v37, 16, v13
	v_fma_f16 v8, v8, 2.0, -v22
	v_fma_f16 v24, v24, 2.0, -v10
	;; [unrolled: 1-line block ×4, first 2 shown]
	s_barrier
	v_pack_b32_f16 v2, v42, v4
	ds_write2_b32 v3, v0, v1 offset1:68
	v_pack_b32_f16 v0, v6, v5
	v_sub_f16_e32 v34, v12, v34
	v_sub_f16_e32 v14, v35, v14
	;; [unrolled: 1-line block ×4, first 2 shown]
	ds_write2_b32 v31, v2, v0 offset0:16 offset1:84
	v_pack_b32_f16 v0, v8, v24
	v_pack_b32_f16 v2, v9, v26
	v_lshrrev_b32_e32 v39, 16, v16
	v_lshrrev_b32_e32 v41, 16, v17
	v_fma_f16 v12, v12, 2.0, -v34
	v_fma_f16 v35, v35, 2.0, -v14
	;; [unrolled: 1-line block ×4, first 2 shown]
	v_pack_b32_f16 v1, v22, v10
	ds_write2_b32 v3, v0, v2 offset0:136 offset1:204
	v_pack_b32_f16 v0, v25, v11
	v_sub_f16_e32 v38, v16, v38
	v_sub_f16_e32 v20, v39, v20
	;; [unrolled: 1-line block ×4, first 2 shown]
	ds_write2_b32 v31, v1, v0 offset0:152 offset1:220
	v_pack_b32_f16 v0, v12, v35
	v_pack_b32_f16 v2, v13, v37
	v_fma_f16 v16, v16, 2.0, -v38
	v_fma_f16 v39, v39, 2.0, -v20
	v_fma_f16 v17, v17, 2.0, -v40
	v_fma_f16 v41, v41, 2.0, -v21
	v_pack_b32_f16 v1, v34, v14
	ds_write2_b32 v33, v0, v2 offset0:32 offset1:100
	v_pack_b32_f16 v0, v36, v15
	ds_write2_b32 v32, v1, v0 offset0:48 offset1:116
	v_pack_b32_f16 v0, v16, v39
	v_pack_b32_f16 v2, v17, v41
	;; [unrolled: 1-line block ×3, first 2 shown]
	ds_write2_b32 v33, v0, v2 offset0:168 offset1:236
	v_pack_b32_f16 v0, v40, v21
	ds_write2_b32 v32, v1, v0 offset0:184 offset1:252
	s_waitcnt lgkmcnt(0)
	s_barrier
	ds_read2_b32 v[0:1], v3 offset1:68
	ds_read2_b32 v[4:5], v33 offset0:32 offset1:100
	ds_read2_b32 v[8:9], v33 offset0:168 offset1:236
	;; [unrolled: 1-line block ×5, first 2 shown]
	s_waitcnt lgkmcnt(4)
	v_lshrrev_b32_e32 v18, 16, v4
	v_mul_f16_sdwa v39, v57, v18 dst_sel:DWORD dst_unused:UNUSED_PAD src0_sel:WORD_1 src1_sel:DWORD
	v_lshrrev_b32_e32 v21, 16, v5
	v_fma_f16 v39, v57, v4, v39
	v_mul_f16_sdwa v4, v57, v4 dst_sel:DWORD dst_unused:UNUSED_PAD src0_sel:WORD_1 src1_sel:DWORD
	v_fma_f16 v4, v57, v18, -v4
	v_mul_f16_sdwa v18, v58, v21 dst_sel:DWORD dst_unused:UNUSED_PAD src0_sel:WORD_1 src1_sel:DWORD
	s_waitcnt lgkmcnt(3)
	v_lshrrev_b32_e32 v24, 16, v8
	v_fma_f16 v18, v58, v5, v18
	v_mul_f16_sdwa v5, v58, v5 dst_sel:DWORD dst_unused:UNUSED_PAD src0_sel:WORD_1 src1_sel:DWORD
	v_fma_f16 v5, v58, v21, -v5
	v_mul_f16_sdwa v21, v59, v24 dst_sel:DWORD dst_unused:UNUSED_PAD src0_sel:WORD_1 src1_sel:DWORD
	v_lshrrev_b32_e32 v26, 16, v9
	v_fma_f16 v21, v59, v8, v21
	v_mul_f16_sdwa v8, v59, v8 dst_sel:DWORD dst_unused:UNUSED_PAD src0_sel:WORD_1 src1_sel:DWORD
	ds_read2_b32 v[14:15], v31 offset0:152 offset1:220
	ds_read2_b32 v[16:17], v32 offset0:184 offset1:252
	v_fma_f16 v8, v59, v24, -v8
	v_mul_f16_sdwa v24, v60, v26 dst_sel:DWORD dst_unused:UNUSED_PAD src0_sel:WORD_1 src1_sel:DWORD
	s_waitcnt lgkmcnt(4)
	v_lshrrev_b32_e32 v31, 16, v12
	v_fma_f16 v24, v60, v9, v24
	v_mul_f16_sdwa v9, v60, v9 dst_sel:DWORD dst_unused:UNUSED_PAD src0_sel:WORD_1 src1_sel:DWORD
	v_fma_f16 v9, v60, v26, -v9
	v_mul_f16_sdwa v26, v61, v31 dst_sel:DWORD dst_unused:UNUSED_PAD src0_sel:WORD_1 src1_sel:DWORD
	v_lshrrev_b32_e32 v34, 16, v13
	v_fma_f16 v26, v61, v12, v26
	v_mul_f16_sdwa v12, v61, v12 dst_sel:DWORD dst_unused:UNUSED_PAD src0_sel:WORD_1 src1_sel:DWORD
	v_fma_f16 v12, v61, v31, -v12
	v_mul_f16_sdwa v31, v62, v34 dst_sel:DWORD dst_unused:UNUSED_PAD src0_sel:WORD_1 src1_sel:DWORD
	s_waitcnt lgkmcnt(0)
	v_lshrrev_b32_e32 v36, 16, v16
	v_fma_f16 v31, v62, v13, v31
	v_mul_f16_sdwa v13, v62, v13 dst_sel:DWORD dst_unused:UNUSED_PAD src0_sel:WORD_1 src1_sel:DWORD
	v_fma_f16 v13, v62, v34, -v13
	v_mul_f16_sdwa v34, v63, v36 dst_sel:DWORD dst_unused:UNUSED_PAD src0_sel:WORD_1 src1_sel:DWORD
	v_lshrrev_b32_e32 v38, 16, v17
	v_fma_f16 v34, v63, v16, v34
	v_mul_f16_sdwa v16, v63, v16 dst_sel:DWORD dst_unused:UNUSED_PAD src0_sel:WORD_1 src1_sel:DWORD
	v_fma_f16 v16, v63, v36, -v16
	v_mul_f16_sdwa v36, v64, v38 dst_sel:DWORD dst_unused:UNUSED_PAD src0_sel:WORD_1 src1_sel:DWORD
	v_lshrrev_b32_e32 v6, 16, v0
	v_lshrrev_b32_e32 v20, 16, v1
	v_fma_f16 v36, v64, v17, v36
	v_mul_f16_sdwa v17, v64, v17 dst_sel:DWORD dst_unused:UNUSED_PAD src0_sel:WORD_1 src1_sel:DWORD
	v_fma_f16 v17, v64, v38, -v17
	v_sub_f16_e32 v38, v0, v39
	v_sub_f16_e32 v4, v6, v4
	v_sub_f16_e32 v18, v1, v18
	v_sub_f16_e32 v5, v20, v5
	v_lshrrev_b32_e32 v22, 16, v2
	v_lshrrev_b32_e32 v25, 16, v3
	v_fma_f16 v0, v0, 2.0, -v38
	v_fma_f16 v6, v6, 2.0, -v4
	;; [unrolled: 1-line block ×4, first 2 shown]
	v_sub_f16_e32 v21, v2, v21
	v_sub_f16_e32 v8, v22, v8
	;; [unrolled: 1-line block ×4, first 2 shown]
	v_pack_b32_f16 v0, v0, v6
	v_pack_b32_f16 v1, v1, v20
	v_lshrrev_b32_e32 v33, 16, v10
	v_lshrrev_b32_e32 v32, 16, v11
	v_fma_f16 v2, v2, 2.0, -v21
	v_fma_f16 v22, v22, 2.0, -v8
	;; [unrolled: 1-line block ×4, first 2 shown]
	v_pack_b32_f16 v4, v38, v4
	ds_write2_b32 v65, v0, v1 offset1:68
	v_pack_b32_f16 v0, v18, v5
	v_add_u32_e32 v1, 0x800, v65
	v_sub_f16_e32 v26, v10, v26
	v_sub_f16_e32 v12, v33, v12
	;; [unrolled: 1-line block ×4, first 2 shown]
	ds_write2_b32 v1, v4, v0 offset0:32 offset1:100
	v_pack_b32_f16 v0, v2, v22
	v_pack_b32_f16 v3, v3, v25
	v_lshrrev_b32_e32 v35, 16, v14
	v_fma_f16 v10, v10, 2.0, -v26
	v_fma_f16 v33, v33, 2.0, -v12
	;; [unrolled: 1-line block ×4, first 2 shown]
	v_pack_b32_f16 v2, v21, v8
	ds_write2_b32 v65, v0, v3 offset0:136 offset1:204
	v_pack_b32_f16 v0, v24, v9
	v_sub_f16_e32 v34, v14, v34
	v_sub_f16_e32 v16, v35, v16
	ds_write2_b32 v1, v2, v0 offset0:168 offset1:236
	v_pack_b32_f16 v0, v10, v33
	v_pack_b32_f16 v2, v11, v32
	v_add_u32_e32 v3, 0x400, v65
	v_lshrrev_b32_e32 v37, 16, v15
	v_fma_f16 v14, v14, 2.0, -v34
	v_fma_f16 v35, v35, 2.0, -v16
	v_pack_b32_f16 v1, v26, v12
	ds_write2_b32 v3, v0, v2 offset0:16 offset1:84
	v_pack_b32_f16 v0, v31, v13
	v_add_u32_e32 v2, 0xc00, v65
	v_sub_f16_e32 v36, v15, v36
	v_sub_f16_e32 v17, v37, v17
	ds_write2_b32 v2, v1, v0 offset0:48 offset1:116
	v_pack_b32_f16 v0, v14, v35
	v_fma_f16 v15, v15, 2.0, -v36
	v_fma_f16 v37, v37, 2.0, -v17
	ds_write_b32 v65, v0 offset:1632
	v_pack_b32_f16 v0, v34, v16
	ds_write_b32 v67, v0 offset:2176
	v_pack_b32_f16 v0, v15, v37
	ds_write_b32 v65, v0 offset:1904
	v_pack_b32_f16 v0, v36, v17
	ds_write_b32 v66, v0 offset:2176
	s_waitcnt lgkmcnt(0)
	s_barrier
	s_and_b64 exec, exec, vcc
	s_cbranch_execz .LBB0_15
; %bb.14:
	global_load_dword v12, v19, s[12:13]
	ds_read_b32 v14, v29
	v_mad_u64_u32 v[2:3], s[0:1], s10, v30, 0
	v_mad_u64_u32 v[4:5], s[0:1], s8, v28, 0
	v_mov_b32_e32 v6, v3
	s_waitcnt lgkmcnt(0)
	v_lshrrev_b32_e32 v3, 16, v14
	v_mov_b32_e32 v8, v5
	v_mad_u64_u32 v[10:11], s[0:1], s11, v30, v[6:7]
	s_mov_b32 s6, 0x1e1e1e1e
	v_mad_u64_u32 v[8:9], s[0:1], s9, v28, v[8:9]
	s_mov_b32 s7, 0x3f4e1e1e
	s_movk_i32 s16, 0x1ff
	s_movk_i32 s15, 0xffe
	v_mov_b32_e32 v0, s2
	v_mov_b32_e32 v1, s3
	;; [unrolled: 1-line block ×3, first 2 shown]
	s_movk_i32 s10, 0x40f
	s_mov_b32 s14, 0x8000
	s_mov_b32 s17, 0xffff
	s_waitcnt vmcnt(0)
	v_mul_f16_sdwa v5, v3, v12 dst_sel:DWORD dst_unused:UNUSED_PAD src0_sel:DWORD src1_sel:WORD_1
	v_mul_f16_sdwa v6, v14, v12 dst_sel:DWORD dst_unused:UNUSED_PAD src0_sel:DWORD src1_sel:WORD_1
	v_fma_f16 v5, v14, v12, v5
	v_fma_f16 v3, v12, v3, -v6
	v_cvt_f32_f16_e32 v6, v5
	v_cvt_f32_f16_e32 v11, v3
	v_mov_b32_e32 v5, v8
	v_mov_b32_e32 v3, v10
	v_cvt_f64_f32_e32 v[8:9], v6
	v_cvt_f64_f32_e32 v[10:11], v11
	v_mul_f64 v[8:9], v[8:9], s[6:7]
	v_mul_f64 v[10:11], v[10:11], s[6:7]
	v_and_or_b32 v6, v9, s16, v8
	v_and_or_b32 v10, v11, s16, v10
	v_cmp_ne_u32_e32 vcc, 0, v6
	v_lshrrev_b32_e32 v8, 8, v9
	v_bfe_u32 v12, v9, 20, 11
	v_cndmask_b32_e64 v6, 0, 1, vcc
	v_cmp_ne_u32_e32 vcc, 0, v10
	v_lshrrev_b32_e32 v14, 8, v11
	v_bfe_u32 v15, v11, 20, 11
	v_sub_u32_e32 v16, 0x3f1, v12
	v_cndmask_b32_e64 v10, 0, 1, vcc
	v_and_or_b32 v6, v8, s15, v6
	v_sub_u32_e32 v17, 0x3f1, v15
	v_med3_i32 v8, v16, 0, 13
	v_and_or_b32 v10, v14, s15, v10
	v_or_b32_e32 v16, 0x1000, v6
	v_add_u32_e32 v12, 0xfffffc10, v12
	v_med3_i32 v14, v17, 0, 13
	v_cmp_ne_u32_e32 vcc, 0, v6
	v_or_b32_e32 v18, 0x1000, v10
	v_lshrrev_b32_e32 v21, v8, v16
	v_add_u32_e32 v15, 0xfffffc10, v15
	v_lshl_or_b32 v17, v12, 12, v6
	v_cndmask_b32_e64 v6, 0, 1, vcc
	v_cmp_ne_u32_e32 vcc, 0, v10
	v_lshrrev_b32_e32 v22, v14, v18
	v_lshlrev_b32_e32 v8, v8, v21
	v_lshl_or_b32 v20, v15, 12, v10
	v_cndmask_b32_e64 v10, 0, 1, vcc
	v_lshlrev_b32_e32 v14, v14, v22
	v_cmp_ne_u32_e32 vcc, v8, v16
	v_lshl_or_b32 v6, v6, 9, v13
	v_lshl_or_b32 v10, v10, 9, v13
	v_cndmask_b32_e64 v8, 0, 1, vcc
	v_cmp_ne_u32_e32 vcc, v14, v18
	v_or_b32_e32 v8, v21, v8
	v_and_b32_sdwa v9, v9, s14 dst_sel:DWORD dst_unused:UNUSED_PAD src0_sel:WORD_1 src1_sel:DWORD
	v_cndmask_b32_e64 v14, 0, 1, vcc
	v_cmp_gt_i32_e32 vcc, 1, v12
	v_or_b32_e32 v14, v22, v14
	v_lshrrev_b32_e32 v11, 16, v11
	v_cndmask_b32_e32 v8, v17, v8, vcc
	v_cmp_gt_i32_e32 vcc, 1, v15
	v_and_b32_e32 v16, 7, v8
	v_cmp_eq_u32_e64 s[0:1], 3, v16
	v_cndmask_b32_e32 v14, v20, v14, vcc
	v_cmp_lt_i32_e32 vcc, 5, v16
	v_lshrrev_b32_e32 v8, 2, v8
	v_and_b32_e32 v17, 7, v14
	s_or_b64 vcc, s[0:1], vcc
	v_cmp_lt_i32_e64 s[2:3], 5, v17
	v_cmp_eq_u32_e64 s[4:5], 3, v17
	v_addc_co_u32_e32 v8, vcc, 0, v8, vcc
	v_lshrrev_b32_e32 v14, 2, v14
	s_or_b64 vcc, s[4:5], s[2:3]
	v_addc_co_u32_e32 v14, vcc, 0, v14, vcc
	v_cmp_gt_i32_e32 vcc, 31, v12
	v_lshl_add_u64 v[0:1], v[2:3], 2, v[0:1]
	v_lshl_add_u64 v[2:3], v[4:5], 2, v[0:1]
	v_cndmask_b32_e32 v8, v13, v8, vcc
	v_cmp_gt_i32_e32 vcc, 31, v15
	s_nop 1
	v_cndmask_b32_e32 v14, v13, v14, vcc
	v_cmp_eq_u32_e32 vcc, s10, v12
	s_nop 1
	v_cndmask_b32_e32 v6, v8, v6, vcc
	v_cmp_eq_u32_e32 vcc, s10, v15
	v_bitop3_b32 v6, v9, s17, v6 bitop3:0xc8
	s_nop 0
	v_cndmask_b32_e32 v8, v14, v10, vcc
	v_and_or_b32 v8, v11, s14, v8
	v_lshl_or_b32 v6, v8, 16, v6
	global_store_dword v[2:3], v6, off
	global_load_dword v15, v19, s[12:13] offset:256
	v_lshl_add_u32 v14, v27, 2, v7
	ds_read2st64_b32 v[8:9], v14 offset0:1 offset1:2
	ds_read2st64_b32 v[4:5], v14 offset0:3 offset1:4
	;; [unrolled: 1-line block ×4, first 2 shown]
	v_mad_u64_u32 v[10:11], s[0:1], s8, v23, 0
	v_mov_b32_e32 v12, v11
	s_waitcnt lgkmcnt(3)
	v_lshrrev_b32_e32 v11, 16, v8
	v_mad_u64_u32 v[16:17], s[0:1], s9, v23, v[12:13]
	s_waitcnt vmcnt(0)
	v_mul_f16_sdwa v12, v11, v15 dst_sel:DWORD dst_unused:UNUSED_PAD src0_sel:DWORD src1_sel:WORD_1
	v_mul_f16_sdwa v17, v8, v15 dst_sel:DWORD dst_unused:UNUSED_PAD src0_sel:DWORD src1_sel:WORD_1
	v_fma_f16 v8, v8, v15, v12
	v_fma_f16 v11, v15, v11, -v17
	v_cvt_f32_f16_e32 v8, v8
	v_cvt_f32_f16_e32 v12, v11
	v_mov_b32_e32 v11, v16
	v_lshl_add_u64 v[10:11], v[10:11], 2, v[0:1]
	v_cvt_f64_f32_e32 v[16:17], v8
	v_cvt_f64_f32_e32 v[20:21], v12
	v_mul_f64 v[16:17], v[16:17], s[6:7]
	v_mul_f64 v[20:21], v[20:21], s[6:7]
	v_and_or_b32 v8, v17, s16, v16
	v_lshrrev_b32_e32 v12, 8, v17
	v_bfe_u32 v15, v17, 20, 11
	v_and_b32_sdwa v16, v17, s14 dst_sel:DWORD dst_unused:UNUSED_PAD src0_sel:WORD_1 src1_sel:DWORD
	v_and_or_b32 v17, v21, s16, v20
	v_cmp_ne_u32_e32 vcc, 0, v8
	v_lshrrev_b32_e32 v18, 8, v21
	v_bfe_u32 v20, v21, 20, 11
	v_cndmask_b32_e64 v8, 0, 1, vcc
	v_cmp_ne_u32_e32 vcc, 0, v17
	v_sub_u32_e32 v22, 0x3f1, v15
	v_and_or_b32 v8, v12, s15, v8
	v_cndmask_b32_e64 v17, 0, 1, vcc
	v_sub_u32_e32 v23, 0x3f1, v20
	v_med3_i32 v12, v22, 0, 13
	v_and_or_b32 v17, v18, s15, v17
	v_or_b32_e32 v22, 0x1000, v8
	v_add_u32_e32 v15, 0xfffffc10, v15
	v_med3_i32 v18, v23, 0, 13
	v_cmp_ne_u32_e32 vcc, 0, v8
	v_or_b32_e32 v24, 0x1000, v17
	v_lshrrev_b32_e32 v26, v12, v22
	v_add_u32_e32 v20, 0xfffffc10, v20
	v_lshl_or_b32 v23, v15, 12, v8
	v_cndmask_b32_e64 v8, 0, 1, vcc
	v_cmp_ne_u32_e32 vcc, 0, v17
	v_lshrrev_b32_e32 v27, v18, v24
	v_lshlrev_b32_e32 v12, v12, v26
	v_lshl_or_b32 v25, v20, 12, v17
	v_cndmask_b32_e64 v17, 0, 1, vcc
	v_lshlrev_b32_e32 v18, v18, v27
	v_cmp_ne_u32_e32 vcc, v12, v22
	v_lshl_or_b32 v8, v8, 9, v13
	v_lshl_or_b32 v17, v17, 9, v13
	v_cndmask_b32_e64 v12, 0, 1, vcc
	v_cmp_ne_u32_e32 vcc, v18, v24
	v_or_b32_e32 v12, v26, v12
	v_lshrrev_b32_e32 v21, 16, v21
	v_cndmask_b32_e64 v18, 0, 1, vcc
	v_cmp_gt_i32_e32 vcc, 1, v15
	v_or_b32_e32 v18, v27, v18
	s_nop 0
	v_cndmask_b32_e32 v12, v23, v12, vcc
	v_cmp_gt_i32_e32 vcc, 1, v20
	v_and_b32_e32 v22, 7, v12
	v_cmp_eq_u32_e64 s[0:1], 3, v22
	v_cndmask_b32_e32 v18, v25, v18, vcc
	v_cmp_lt_i32_e32 vcc, 5, v22
	v_lshrrev_b32_e32 v12, 2, v12
	v_and_b32_e32 v23, 7, v18
	s_or_b64 vcc, s[0:1], vcc
	v_cmp_lt_i32_e64 s[2:3], 5, v23
	v_cmp_eq_u32_e64 s[4:5], 3, v23
	v_addc_co_u32_e32 v12, vcc, 0, v12, vcc
	v_lshrrev_b32_e32 v18, 2, v18
	s_or_b64 vcc, s[4:5], s[2:3]
	v_addc_co_u32_e32 v18, vcc, 0, v18, vcc
	v_cmp_gt_i32_e32 vcc, 31, v15
	s_nop 1
	v_cndmask_b32_e32 v12, v13, v12, vcc
	v_cmp_gt_i32_e32 vcc, 31, v20
	s_nop 1
	v_cndmask_b32_e32 v18, v13, v18, vcc
	v_cmp_eq_u32_e32 vcc, s10, v15
	v_or_b32_e32 v15, 0x80, v28
	s_nop 0
	v_cndmask_b32_e32 v8, v12, v8, vcc
	v_cmp_eq_u32_e32 vcc, s10, v20
	v_bitop3_b32 v8, v16, s17, v8 bitop3:0xc8
	s_nop 0
	v_cndmask_b32_e32 v12, v18, v17, vcc
	v_and_or_b32 v12, v21, s14, v12
	v_lshl_or_b32 v8, v12, 16, v8
	global_store_dword v[10:11], v8, off
	global_load_dword v12, v19, s[12:13] offset:512
	v_mad_u64_u32 v[10:11], s[0:1], s8, v15, 0
	v_mov_b32_e32 v8, v11
	v_mad_u64_u32 v[16:17], s[0:1], s9, v15, v[8:9]
	v_lshrrev_b32_e32 v8, 16, v9
	s_waitcnt vmcnt(0)
	v_mul_f16_sdwa v11, v8, v12 dst_sel:DWORD dst_unused:UNUSED_PAD src0_sel:DWORD src1_sel:WORD_1
	v_mul_f16_sdwa v15, v9, v12 dst_sel:DWORD dst_unused:UNUSED_PAD src0_sel:DWORD src1_sel:WORD_1
	v_fma_f16 v9, v9, v12, v11
	v_fma_f16 v8, v12, v8, -v15
	v_cvt_f32_f16_e32 v12, v9
	v_cvt_f32_f16_e32 v15, v8
	v_mov_b32_e32 v11, v16
	v_lshl_add_u64 v[8:9], v[10:11], 2, v[0:1]
	v_cvt_f64_f32_e32 v[10:11], v12
	v_cvt_f64_f32_e32 v[16:17], v15
	v_mul_f64 v[10:11], v[10:11], s[6:7]
	v_mul_f64 v[16:17], v[16:17], s[6:7]
	v_and_or_b32 v10, v11, s16, v10
	v_and_or_b32 v16, v17, s16, v16
	v_cmp_ne_u32_e32 vcc, 0, v10
	v_lshrrev_b32_e32 v12, 8, v11
	v_bfe_u32 v15, v11, 20, 11
	v_cndmask_b32_e64 v10, 0, 1, vcc
	v_cmp_ne_u32_e32 vcc, 0, v16
	v_lshrrev_b32_e32 v18, 8, v17
	v_bfe_u32 v20, v17, 20, 11
	v_sub_u32_e32 v21, 0x3f1, v15
	v_cndmask_b32_e64 v16, 0, 1, vcc
	v_and_or_b32 v10, v12, s15, v10
	v_sub_u32_e32 v22, 0x3f1, v20
	v_med3_i32 v12, v21, 0, 13
	v_and_or_b32 v16, v18, s15, v16
	v_or_b32_e32 v21, 0x1000, v10
	v_add_u32_e32 v15, 0xfffffc10, v15
	v_med3_i32 v18, v22, 0, 13
	v_cmp_ne_u32_e32 vcc, 0, v10
	v_or_b32_e32 v23, 0x1000, v16
	v_lshrrev_b32_e32 v25, v12, v21
	v_add_u32_e32 v20, 0xfffffc10, v20
	v_lshl_or_b32 v22, v15, 12, v10
	v_cndmask_b32_e64 v10, 0, 1, vcc
	v_cmp_ne_u32_e32 vcc, 0, v16
	v_lshrrev_b32_e32 v26, v18, v23
	v_lshlrev_b32_e32 v12, v12, v25
	v_lshl_or_b32 v24, v20, 12, v16
	v_cndmask_b32_e64 v16, 0, 1, vcc
	v_lshlrev_b32_e32 v18, v18, v26
	v_cmp_ne_u32_e32 vcc, v12, v21
	v_lshl_or_b32 v10, v10, 9, v13
	v_lshl_or_b32 v16, v16, 9, v13
	v_cndmask_b32_e64 v12, 0, 1, vcc
	v_cmp_ne_u32_e32 vcc, v18, v23
	v_or_b32_e32 v12, v25, v12
	v_and_b32_sdwa v11, v11, s14 dst_sel:DWORD dst_unused:UNUSED_PAD src0_sel:WORD_1 src1_sel:DWORD
	v_cndmask_b32_e64 v18, 0, 1, vcc
	v_cmp_gt_i32_e32 vcc, 1, v15
	v_or_b32_e32 v18, v26, v18
	v_lshrrev_b32_e32 v17, 16, v17
	v_cndmask_b32_e32 v12, v22, v12, vcc
	v_cmp_gt_i32_e32 vcc, 1, v20
	v_and_b32_e32 v21, 7, v12
	v_cmp_eq_u32_e64 s[0:1], 3, v21
	v_cndmask_b32_e32 v18, v24, v18, vcc
	v_cmp_lt_i32_e32 vcc, 5, v21
	v_lshrrev_b32_e32 v12, 2, v12
	v_and_b32_e32 v22, 7, v18
	s_or_b64 vcc, s[0:1], vcc
	v_cmp_lt_i32_e64 s[2:3], 5, v22
	v_cmp_eq_u32_e64 s[4:5], 3, v22
	v_addc_co_u32_e32 v12, vcc, 0, v12, vcc
	v_lshrrev_b32_e32 v18, 2, v18
	s_or_b64 vcc, s[4:5], s[2:3]
	v_addc_co_u32_e32 v18, vcc, 0, v18, vcc
	v_cmp_gt_i32_e32 vcc, 31, v15
	s_nop 1
	v_cndmask_b32_e32 v12, v13, v12, vcc
	v_cmp_gt_i32_e32 vcc, 31, v20
	s_nop 1
	v_cndmask_b32_e32 v18, v13, v18, vcc
	v_cmp_eq_u32_e32 vcc, s10, v15
	s_nop 1
	v_cndmask_b32_e32 v10, v12, v10, vcc
	v_cmp_eq_u32_e32 vcc, s10, v20
	v_bitop3_b32 v10, v11, s17, v10 bitop3:0xc8
	v_or_b32_e32 v11, 0xc0, v28
	v_cndmask_b32_e32 v12, v18, v16, vcc
	v_and_or_b32 v12, v17, s14, v12
	v_lshl_or_b32 v10, v12, 16, v10
	global_store_dword v[8:9], v10, off
	global_load_dword v12, v19, s[12:13] offset:768
	v_mad_u64_u32 v[8:9], s[0:1], s8, v11, 0
	v_mov_b32_e32 v10, v9
	v_mad_u64_u32 v[10:11], s[0:1], s9, v11, v[10:11]
	s_waitcnt lgkmcnt(2)
	v_lshrrev_b32_e32 v9, 16, v4
	s_waitcnt vmcnt(0)
	v_mul_f16_sdwa v11, v9, v12 dst_sel:DWORD dst_unused:UNUSED_PAD src0_sel:DWORD src1_sel:WORD_1
	v_mul_f16_sdwa v15, v4, v12 dst_sel:DWORD dst_unused:UNUSED_PAD src0_sel:DWORD src1_sel:WORD_1
	v_fma_f16 v4, v4, v12, v11
	v_fma_f16 v9, v12, v9, -v15
	v_cvt_f32_f16_e32 v4, v4
	v_cvt_f32_f16_e32 v12, v9
	v_mov_b32_e32 v9, v10
	v_lshl_add_u64 v[8:9], v[8:9], 2, v[0:1]
	v_cvt_f64_f32_e32 v[10:11], v4
	v_cvt_f64_f32_e32 v[16:17], v12
	v_mul_f64 v[10:11], v[10:11], s[6:7]
	v_mul_f64 v[16:17], v[16:17], s[6:7]
	v_and_or_b32 v4, v11, s16, v10
	v_and_or_b32 v15, v17, s16, v16
	v_cmp_ne_u32_e32 vcc, 0, v4
	v_lshrrev_b32_e32 v10, 8, v11
	v_bfe_u32 v12, v11, 20, 11
	v_cndmask_b32_e64 v4, 0, 1, vcc
	v_cmp_ne_u32_e32 vcc, 0, v15
	v_lshrrev_b32_e32 v16, 8, v17
	v_bfe_u32 v18, v17, 20, 11
	v_sub_u32_e32 v20, 0x3f1, v12
	v_cndmask_b32_e64 v15, 0, 1, vcc
	v_and_or_b32 v4, v10, s15, v4
	v_sub_u32_e32 v21, 0x3f1, v18
	v_med3_i32 v10, v20, 0, 13
	v_and_or_b32 v15, v16, s15, v15
	v_or_b32_e32 v20, 0x1000, v4
	v_add_u32_e32 v12, 0xfffffc10, v12
	v_med3_i32 v16, v21, 0, 13
	v_cmp_ne_u32_e32 vcc, 0, v4
	v_or_b32_e32 v22, 0x1000, v15
	v_lshrrev_b32_e32 v24, v10, v20
	v_add_u32_e32 v18, 0xfffffc10, v18
	v_lshl_or_b32 v21, v12, 12, v4
	v_cndmask_b32_e64 v4, 0, 1, vcc
	v_cmp_ne_u32_e32 vcc, 0, v15
	v_lshrrev_b32_e32 v25, v16, v22
	v_lshlrev_b32_e32 v10, v10, v24
	v_lshl_or_b32 v23, v18, 12, v15
	v_cndmask_b32_e64 v15, 0, 1, vcc
	v_lshlrev_b32_e32 v16, v16, v25
	v_cmp_ne_u32_e32 vcc, v10, v20
	v_lshl_or_b32 v4, v4, 9, v13
	v_lshl_or_b32 v15, v15, 9, v13
	v_cndmask_b32_e64 v10, 0, 1, vcc
	v_cmp_ne_u32_e32 vcc, v16, v22
	v_or_b32_e32 v10, v24, v10
	v_and_b32_sdwa v11, v11, s14 dst_sel:DWORD dst_unused:UNUSED_PAD src0_sel:WORD_1 src1_sel:DWORD
	v_cndmask_b32_e64 v16, 0, 1, vcc
	v_cmp_gt_i32_e32 vcc, 1, v12
	v_or_b32_e32 v16, v25, v16
	v_lshrrev_b32_e32 v17, 16, v17
	v_cndmask_b32_e32 v10, v21, v10, vcc
	v_cmp_gt_i32_e32 vcc, 1, v18
	v_and_b32_e32 v20, 7, v10
	v_cmp_eq_u32_e64 s[0:1], 3, v20
	v_cndmask_b32_e32 v16, v23, v16, vcc
	v_cmp_lt_i32_e32 vcc, 5, v20
	v_lshrrev_b32_e32 v10, 2, v10
	v_and_b32_e32 v21, 7, v16
	s_or_b64 vcc, s[0:1], vcc
	v_cmp_lt_i32_e64 s[2:3], 5, v21
	v_cmp_eq_u32_e64 s[4:5], 3, v21
	v_addc_co_u32_e32 v10, vcc, 0, v10, vcc
	v_lshrrev_b32_e32 v16, 2, v16
	s_or_b64 vcc, s[4:5], s[2:3]
	v_addc_co_u32_e32 v16, vcc, 0, v16, vcc
	v_cmp_gt_i32_e32 vcc, 31, v12
	s_nop 1
	v_cndmask_b32_e32 v10, v13, v10, vcc
	v_cmp_gt_i32_e32 vcc, 31, v18
	s_nop 1
	v_cndmask_b32_e32 v16, v13, v16, vcc
	v_cmp_eq_u32_e32 vcc, s10, v12
	s_nop 1
	v_cndmask_b32_e32 v4, v10, v4, vcc
	v_cmp_eq_u32_e32 vcc, s10, v18
	v_bitop3_b32 v4, v11, s17, v4 bitop3:0xc8
	s_nop 0
	v_cndmask_b32_e32 v10, v16, v15, vcc
	v_and_or_b32 v10, v17, s14, v10
	v_lshl_or_b32 v4, v10, 16, v4
	global_store_dword v[8:9], v4, off
	global_load_dword v12, v19, s[12:13] offset:1024
	v_or_b32_e32 v10, 0x100, v28
	v_mad_u64_u32 v[8:9], s[0:1], s8, v10, 0
	v_mov_b32_e32 v4, v9
	v_mad_u64_u32 v[10:11], s[0:1], s9, v10, v[4:5]
	v_lshrrev_b32_e32 v4, 16, v5
	s_waitcnt vmcnt(0)
	v_mul_f16_sdwa v9, v4, v12 dst_sel:DWORD dst_unused:UNUSED_PAD src0_sel:DWORD src1_sel:WORD_1
	v_mul_f16_sdwa v11, v5, v12 dst_sel:DWORD dst_unused:UNUSED_PAD src0_sel:DWORD src1_sel:WORD_1
	v_fma_f16 v5, v5, v12, v9
	v_fma_f16 v4, v12, v4, -v11
	v_cvt_f32_f16_e32 v11, v5
	v_cvt_f32_f16_e32 v12, v4
	v_mov_b32_e32 v9, v10
	v_lshl_add_u64 v[4:5], v[8:9], 2, v[0:1]
	v_cvt_f64_f32_e32 v[8:9], v11
	v_cvt_f64_f32_e32 v[10:11], v12
	v_mul_f64 v[8:9], v[8:9], s[6:7]
	v_mul_f64 v[10:11], v[10:11], s[6:7]
	v_and_or_b32 v8, v9, s16, v8
	v_and_or_b32 v10, v11, s16, v10
	v_cmp_ne_u32_e32 vcc, 0, v8
	v_lshrrev_b32_e32 v12, 8, v9
	v_bfe_u32 v15, v9, 20, 11
	v_cndmask_b32_e64 v8, 0, 1, vcc
	v_cmp_ne_u32_e32 vcc, 0, v10
	v_lshrrev_b32_e32 v16, 8, v11
	v_bfe_u32 v17, v11, 20, 11
	v_sub_u32_e32 v18, 0x3f1, v15
	v_cndmask_b32_e64 v10, 0, 1, vcc
	v_and_or_b32 v8, v12, s15, v8
	v_sub_u32_e32 v20, 0x3f1, v17
	v_med3_i32 v12, v18, 0, 13
	v_and_or_b32 v10, v16, s15, v10
	v_or_b32_e32 v18, 0x1000, v8
	v_add_u32_e32 v15, 0xfffffc10, v15
	v_med3_i32 v16, v20, 0, 13
	v_cmp_ne_u32_e32 vcc, 0, v8
	v_or_b32_e32 v21, 0x1000, v10
	v_lshrrev_b32_e32 v23, v12, v18
	v_add_u32_e32 v17, 0xfffffc10, v17
	v_lshl_or_b32 v20, v15, 12, v8
	v_cndmask_b32_e64 v8, 0, 1, vcc
	v_cmp_ne_u32_e32 vcc, 0, v10
	v_lshrrev_b32_e32 v24, v16, v21
	v_lshlrev_b32_e32 v12, v12, v23
	v_lshl_or_b32 v22, v17, 12, v10
	v_cndmask_b32_e64 v10, 0, 1, vcc
	v_lshlrev_b32_e32 v16, v16, v24
	v_cmp_ne_u32_e32 vcc, v12, v18
	v_lshl_or_b32 v8, v8, 9, v13
	v_lshl_or_b32 v10, v10, 9, v13
	v_cndmask_b32_e64 v12, 0, 1, vcc
	v_cmp_ne_u32_e32 vcc, v16, v21
	v_or_b32_e32 v12, v23, v12
	v_and_b32_sdwa v9, v9, s14 dst_sel:DWORD dst_unused:UNUSED_PAD src0_sel:WORD_1 src1_sel:DWORD
	v_cndmask_b32_e64 v16, 0, 1, vcc
	v_cmp_gt_i32_e32 vcc, 1, v15
	v_or_b32_e32 v16, v24, v16
	v_lshrrev_b32_e32 v11, 16, v11
	v_cndmask_b32_e32 v12, v20, v12, vcc
	v_cmp_gt_i32_e32 vcc, 1, v17
	v_and_b32_e32 v18, 7, v12
	v_cmp_eq_u32_e64 s[0:1], 3, v18
	v_cndmask_b32_e32 v16, v22, v16, vcc
	v_cmp_lt_i32_e32 vcc, 5, v18
	v_lshrrev_b32_e32 v12, 2, v12
	v_and_b32_e32 v20, 7, v16
	s_or_b64 vcc, s[0:1], vcc
	v_cmp_lt_i32_e64 s[2:3], 5, v20
	v_cmp_eq_u32_e64 s[4:5], 3, v20
	v_addc_co_u32_e32 v12, vcc, 0, v12, vcc
	v_lshrrev_b32_e32 v16, 2, v16
	s_or_b64 vcc, s[4:5], s[2:3]
	v_addc_co_u32_e32 v16, vcc, 0, v16, vcc
	v_cmp_gt_i32_e32 vcc, 31, v15
	s_nop 1
	v_cndmask_b32_e32 v12, v13, v12, vcc
	v_cmp_gt_i32_e32 vcc, 31, v17
	s_nop 1
	v_cndmask_b32_e32 v16, v13, v16, vcc
	v_cmp_eq_u32_e32 vcc, s10, v15
	s_nop 1
	v_cndmask_b32_e32 v8, v12, v8, vcc
	v_cmp_eq_u32_e32 vcc, s10, v17
	v_bitop3_b32 v8, v9, s17, v8 bitop3:0xc8
	v_or_b32_e32 v9, 0x140, v28
	v_cndmask_b32_e32 v10, v16, v10, vcc
	v_and_or_b32 v10, v11, s14, v10
	v_lshl_or_b32 v8, v10, 16, v8
	global_store_dword v[4:5], v8, off
	global_load_dword v10, v19, s[12:13] offset:1280
	v_mad_u64_u32 v[4:5], s[0:1], s8, v9, 0
	v_mov_b32_e32 v8, v5
	v_mad_u64_u32 v[8:9], s[0:1], s9, v9, v[8:9]
	s_waitcnt lgkmcnt(1)
	v_lshrrev_b32_e32 v5, 16, v6
	s_waitcnt vmcnt(0)
	v_mul_f16_sdwa v9, v5, v10 dst_sel:DWORD dst_unused:UNUSED_PAD src0_sel:DWORD src1_sel:WORD_1
	v_mul_f16_sdwa v11, v6, v10 dst_sel:DWORD dst_unused:UNUSED_PAD src0_sel:DWORD src1_sel:WORD_1
	v_fma_f16 v6, v6, v10, v9
	v_fma_f16 v5, v10, v5, -v11
	v_cvt_f32_f16_e32 v6, v6
	v_cvt_f32_f16_e32 v10, v5
	v_mov_b32_e32 v5, v8
	v_lshl_add_u64 v[4:5], v[4:5], 2, v[0:1]
	v_cvt_f64_f32_e32 v[8:9], v6
	v_cvt_f64_f32_e32 v[10:11], v10
	v_mul_f64 v[8:9], v[8:9], s[6:7]
	v_mul_f64 v[10:11], v[10:11], s[6:7]
	v_and_or_b32 v6, v9, s16, v8
	v_and_or_b32 v10, v11, s16, v10
	v_cmp_ne_u32_e32 vcc, 0, v6
	v_lshrrev_b32_e32 v8, 8, v9
	v_bfe_u32 v12, v9, 20, 11
	v_cndmask_b32_e64 v6, 0, 1, vcc
	v_cmp_ne_u32_e32 vcc, 0, v10
	v_lshrrev_b32_e32 v15, 8, v11
	v_bfe_u32 v16, v11, 20, 11
	v_sub_u32_e32 v17, 0x3f1, v12
	v_cndmask_b32_e64 v10, 0, 1, vcc
	v_and_or_b32 v6, v8, s15, v6
	v_sub_u32_e32 v18, 0x3f1, v16
	v_med3_i32 v8, v17, 0, 13
	v_and_or_b32 v10, v15, s15, v10
	v_or_b32_e32 v17, 0x1000, v6
	v_add_u32_e32 v12, 0xfffffc10, v12
	v_med3_i32 v15, v18, 0, 13
	v_cmp_ne_u32_e32 vcc, 0, v6
	v_or_b32_e32 v20, 0x1000, v10
	v_lshrrev_b32_e32 v22, v8, v17
	v_add_u32_e32 v16, 0xfffffc10, v16
	v_lshl_or_b32 v18, v12, 12, v6
	v_cndmask_b32_e64 v6, 0, 1, vcc
	v_cmp_ne_u32_e32 vcc, 0, v10
	v_lshrrev_b32_e32 v23, v15, v20
	v_lshlrev_b32_e32 v8, v8, v22
	v_lshl_or_b32 v21, v16, 12, v10
	v_cndmask_b32_e64 v10, 0, 1, vcc
	v_lshlrev_b32_e32 v15, v15, v23
	v_cmp_ne_u32_e32 vcc, v8, v17
	v_lshl_or_b32 v6, v6, 9, v13
	v_lshl_or_b32 v10, v10, 9, v13
	v_cndmask_b32_e64 v8, 0, 1, vcc
	v_cmp_ne_u32_e32 vcc, v15, v20
	v_or_b32_e32 v8, v22, v8
	v_and_b32_sdwa v9, v9, s14 dst_sel:DWORD dst_unused:UNUSED_PAD src0_sel:WORD_1 src1_sel:DWORD
	v_cndmask_b32_e64 v15, 0, 1, vcc
	v_cmp_gt_i32_e32 vcc, 1, v12
	v_or_b32_e32 v15, v23, v15
	v_lshrrev_b32_e32 v11, 16, v11
	v_cndmask_b32_e32 v8, v18, v8, vcc
	v_cmp_gt_i32_e32 vcc, 1, v16
	v_and_b32_e32 v17, 7, v8
	v_cmp_eq_u32_e64 s[0:1], 3, v17
	v_cndmask_b32_e32 v15, v21, v15, vcc
	v_cmp_lt_i32_e32 vcc, 5, v17
	v_lshrrev_b32_e32 v8, 2, v8
	v_and_b32_e32 v18, 7, v15
	s_or_b64 vcc, s[0:1], vcc
	v_cmp_lt_i32_e64 s[2:3], 5, v18
	v_cmp_eq_u32_e64 s[4:5], 3, v18
	v_addc_co_u32_e32 v8, vcc, 0, v8, vcc
	v_lshrrev_b32_e32 v15, 2, v15
	s_or_b64 vcc, s[4:5], s[2:3]
	v_addc_co_u32_e32 v15, vcc, 0, v15, vcc
	v_cmp_gt_i32_e32 vcc, 31, v12
	s_nop 1
	v_cndmask_b32_e32 v8, v13, v8, vcc
	v_cmp_gt_i32_e32 vcc, 31, v16
	s_nop 1
	v_cndmask_b32_e32 v15, v13, v15, vcc
	v_cmp_eq_u32_e32 vcc, s10, v12
	s_nop 1
	v_cndmask_b32_e32 v6, v8, v6, vcc
	v_cmp_eq_u32_e32 vcc, s10, v16
	v_bitop3_b32 v6, v9, s17, v6 bitop3:0xc8
	s_nop 0
	v_cndmask_b32_e32 v8, v15, v10, vcc
	v_and_or_b32 v8, v11, s14, v8
	v_lshl_or_b32 v6, v8, 16, v6
	global_store_dword v[4:5], v6, off
	global_load_dword v10, v19, s[12:13] offset:1536
	v_or_b32_e32 v8, 0x180, v28
	v_mad_u64_u32 v[4:5], s[0:1], s8, v8, 0
	v_mov_b32_e32 v6, v5
	v_lshrrev_b32_e32 v5, 16, v7
	v_mad_u64_u32 v[8:9], s[0:1], s9, v8, v[6:7]
	s_waitcnt vmcnt(0)
	v_mul_f16_sdwa v6, v5, v10 dst_sel:DWORD dst_unused:UNUSED_PAD src0_sel:DWORD src1_sel:WORD_1
	v_mul_f16_sdwa v9, v7, v10 dst_sel:DWORD dst_unused:UNUSED_PAD src0_sel:DWORD src1_sel:WORD_1
	v_fma_f16 v6, v7, v10, v6
	v_fma_f16 v5, v10, v5, -v9
	v_cvt_f32_f16_e32 v6, v6
	v_cvt_f32_f16_e32 v9, v5
	v_mov_b32_e32 v5, v8
	v_lshl_add_u64 v[4:5], v[4:5], 2, v[0:1]
	v_cvt_f64_f32_e32 v[6:7], v6
	v_cvt_f64_f32_e32 v[8:9], v9
	v_mul_f64 v[6:7], v[6:7], s[6:7]
	v_mul_f64 v[8:9], v[8:9], s[6:7]
	v_and_or_b32 v6, v7, s16, v6
	v_and_or_b32 v8, v9, s16, v8
	v_cmp_ne_u32_e32 vcc, 0, v6
	v_lshrrev_b32_e32 v10, 8, v7
	v_bfe_u32 v11, v7, 20, 11
	v_cndmask_b32_e64 v6, 0, 1, vcc
	v_cmp_ne_u32_e32 vcc, 0, v8
	v_lshrrev_b32_e32 v12, 8, v9
	v_bfe_u32 v15, v9, 20, 11
	v_sub_u32_e32 v16, 0x3f1, v11
	v_cndmask_b32_e64 v8, 0, 1, vcc
	v_and_or_b32 v6, v10, s15, v6
	v_sub_u32_e32 v17, 0x3f1, v15
	v_med3_i32 v10, v16, 0, 13
	v_and_or_b32 v8, v12, s15, v8
	v_or_b32_e32 v16, 0x1000, v6
	v_add_u32_e32 v11, 0xfffffc10, v11
	v_med3_i32 v12, v17, 0, 13
	v_cmp_ne_u32_e32 vcc, 0, v6
	v_or_b32_e32 v18, 0x1000, v8
	v_lshrrev_b32_e32 v21, v10, v16
	v_add_u32_e32 v15, 0xfffffc10, v15
	v_lshl_or_b32 v17, v11, 12, v6
	v_cndmask_b32_e64 v6, 0, 1, vcc
	v_cmp_ne_u32_e32 vcc, 0, v8
	v_lshrrev_b32_e32 v22, v12, v18
	v_lshlrev_b32_e32 v10, v10, v21
	v_lshl_or_b32 v20, v15, 12, v8
	v_cndmask_b32_e64 v8, 0, 1, vcc
	v_lshlrev_b32_e32 v12, v12, v22
	v_cmp_ne_u32_e32 vcc, v10, v16
	v_lshl_or_b32 v6, v6, 9, v13
	v_lshl_or_b32 v8, v8, 9, v13
	v_cndmask_b32_e64 v10, 0, 1, vcc
	v_cmp_ne_u32_e32 vcc, v12, v18
	v_or_b32_e32 v10, v21, v10
	v_and_b32_sdwa v7, v7, s14 dst_sel:DWORD dst_unused:UNUSED_PAD src0_sel:WORD_1 src1_sel:DWORD
	v_cndmask_b32_e64 v12, 0, 1, vcc
	v_cmp_gt_i32_e32 vcc, 1, v11
	v_or_b32_e32 v12, v22, v12
	v_lshrrev_b32_e32 v9, 16, v9
	v_cndmask_b32_e32 v10, v17, v10, vcc
	v_cmp_gt_i32_e32 vcc, 1, v15
	v_and_b32_e32 v16, 7, v10
	v_cmp_eq_u32_e64 s[0:1], 3, v16
	v_cndmask_b32_e32 v12, v20, v12, vcc
	v_cmp_lt_i32_e32 vcc, 5, v16
	v_lshrrev_b32_e32 v10, 2, v10
	v_and_b32_e32 v17, 7, v12
	s_or_b64 vcc, s[0:1], vcc
	v_cmp_lt_i32_e64 s[2:3], 5, v17
	v_cmp_eq_u32_e64 s[4:5], 3, v17
	v_addc_co_u32_e32 v10, vcc, 0, v10, vcc
	v_lshrrev_b32_e32 v12, 2, v12
	s_or_b64 vcc, s[4:5], s[2:3]
	v_addc_co_u32_e32 v12, vcc, 0, v12, vcc
	v_cmp_gt_i32_e32 vcc, 31, v11
	s_nop 1
	v_cndmask_b32_e32 v10, v13, v10, vcc
	v_cmp_gt_i32_e32 vcc, 31, v15
	s_nop 1
	v_cndmask_b32_e32 v12, v13, v12, vcc
	v_cmp_eq_u32_e32 vcc, s10, v11
	s_nop 1
	v_cndmask_b32_e32 v6, v10, v6, vcc
	v_cmp_eq_u32_e32 vcc, s10, v15
	v_bitop3_b32 v6, v7, s17, v6 bitop3:0xc8
	v_or_b32_e32 v7, 0x1c0, v28
	v_cndmask_b32_e32 v8, v12, v8, vcc
	v_and_or_b32 v8, v9, s14, v8
	v_lshl_or_b32 v6, v8, 16, v6
	global_store_dword v[4:5], v6, off
	global_load_dword v8, v19, s[12:13] offset:1792
	v_mad_u64_u32 v[4:5], s[0:1], s8, v7, 0
	v_mov_b32_e32 v6, v5
	v_mad_u64_u32 v[6:7], s[0:1], s9, v7, v[6:7]
	s_waitcnt lgkmcnt(0)
	v_lshrrev_b32_e32 v5, 16, v2
	s_waitcnt vmcnt(0)
	v_mul_f16_sdwa v7, v5, v8 dst_sel:DWORD dst_unused:UNUSED_PAD src0_sel:DWORD src1_sel:WORD_1
	v_mul_f16_sdwa v9, v2, v8 dst_sel:DWORD dst_unused:UNUSED_PAD src0_sel:DWORD src1_sel:WORD_1
	v_fma_f16 v2, v2, v8, v7
	v_fma_f16 v5, v8, v5, -v9
	v_cvt_f32_f16_e32 v2, v2
	v_cvt_f32_f16_e32 v8, v5
	v_mov_b32_e32 v5, v6
	v_lshl_add_u64 v[4:5], v[4:5], 2, v[0:1]
	v_cvt_f64_f32_e32 v[6:7], v2
	v_cvt_f64_f32_e32 v[8:9], v8
	v_mul_f64 v[6:7], v[6:7], s[6:7]
	v_mul_f64 v[8:9], v[8:9], s[6:7]
	v_and_or_b32 v2, v7, s16, v6
	v_and_or_b32 v8, v9, s16, v8
	v_cmp_ne_u32_e32 vcc, 0, v2
	v_lshrrev_b32_e32 v6, 8, v7
	v_bfe_u32 v10, v7, 20, 11
	v_cndmask_b32_e64 v2, 0, 1, vcc
	v_cmp_ne_u32_e32 vcc, 0, v8
	v_lshrrev_b32_e32 v11, 8, v9
	v_bfe_u32 v12, v9, 20, 11
	v_sub_u32_e32 v15, 0x3f1, v10
	v_cndmask_b32_e64 v8, 0, 1, vcc
	v_and_or_b32 v2, v6, s15, v2
	v_sub_u32_e32 v16, 0x3f1, v12
	v_med3_i32 v6, v15, 0, 13
	v_and_or_b32 v8, v11, s15, v8
	v_or_b32_e32 v15, 0x1000, v2
	v_add_u32_e32 v10, 0xfffffc10, v10
	v_med3_i32 v11, v16, 0, 13
	v_cmp_ne_u32_e32 vcc, 0, v2
	v_or_b32_e32 v17, 0x1000, v8
	v_lshrrev_b32_e32 v20, v6, v15
	v_add_u32_e32 v12, 0xfffffc10, v12
	v_lshl_or_b32 v16, v10, 12, v2
	v_cndmask_b32_e64 v2, 0, 1, vcc
	v_cmp_ne_u32_e32 vcc, 0, v8
	v_lshrrev_b32_e32 v21, v11, v17
	v_lshlrev_b32_e32 v6, v6, v20
	v_lshl_or_b32 v18, v12, 12, v8
	v_cndmask_b32_e64 v8, 0, 1, vcc
	v_lshlrev_b32_e32 v11, v11, v21
	v_cmp_ne_u32_e32 vcc, v6, v15
	v_lshl_or_b32 v2, v2, 9, v13
	v_lshl_or_b32 v8, v8, 9, v13
	v_cndmask_b32_e64 v6, 0, 1, vcc
	v_cmp_ne_u32_e32 vcc, v11, v17
	v_or_b32_e32 v6, v20, v6
	v_and_b32_sdwa v7, v7, s14 dst_sel:DWORD dst_unused:UNUSED_PAD src0_sel:WORD_1 src1_sel:DWORD
	v_cndmask_b32_e64 v11, 0, 1, vcc
	v_cmp_gt_i32_e32 vcc, 1, v10
	v_or_b32_e32 v11, v21, v11
	v_lshrrev_b32_e32 v9, 16, v9
	v_cndmask_b32_e32 v6, v16, v6, vcc
	v_cmp_gt_i32_e32 vcc, 1, v12
	v_and_b32_e32 v15, 7, v6
	v_cmp_eq_u32_e64 s[0:1], 3, v15
	v_cndmask_b32_e32 v11, v18, v11, vcc
	v_cmp_lt_i32_e32 vcc, 5, v15
	v_lshrrev_b32_e32 v6, 2, v6
	v_and_b32_e32 v16, 7, v11
	s_or_b64 vcc, s[0:1], vcc
	v_cmp_lt_i32_e64 s[2:3], 5, v16
	v_cmp_eq_u32_e64 s[4:5], 3, v16
	v_addc_co_u32_e32 v6, vcc, 0, v6, vcc
	v_lshrrev_b32_e32 v11, 2, v11
	s_or_b64 vcc, s[4:5], s[2:3]
	v_addc_co_u32_e32 v11, vcc, 0, v11, vcc
	v_cmp_gt_i32_e32 vcc, 31, v10
	s_nop 1
	v_cndmask_b32_e32 v6, v13, v6, vcc
	v_cmp_gt_i32_e32 vcc, 31, v12
	s_nop 1
	v_cndmask_b32_e32 v11, v13, v11, vcc
	v_cmp_eq_u32_e32 vcc, s10, v10
	s_nop 1
	v_cndmask_b32_e32 v2, v6, v2, vcc
	v_cmp_eq_u32_e32 vcc, s10, v12
	v_bitop3_b32 v2, v7, s17, v2 bitop3:0xc8
	s_nop 0
	v_cndmask_b32_e32 v6, v11, v8, vcc
	v_and_or_b32 v6, v9, s14, v6
	v_lshl_or_b32 v2, v6, 16, v2
	global_store_dword v[4:5], v2, off
	global_load_dword v8, v19, s[12:13] offset:2048
	v_or_b32_e32 v6, 0x200, v28
	v_mad_u64_u32 v[4:5], s[0:1], s8, v6, 0
	v_mov_b32_e32 v2, v5
	v_mad_u64_u32 v[6:7], s[0:1], s9, v6, v[2:3]
	v_lshrrev_b32_e32 v2, 16, v3
	s_waitcnt vmcnt(0)
	v_mul_f16_sdwa v5, v2, v8 dst_sel:DWORD dst_unused:UNUSED_PAD src0_sel:DWORD src1_sel:WORD_1
	v_mul_f16_sdwa v7, v3, v8 dst_sel:DWORD dst_unused:UNUSED_PAD src0_sel:DWORD src1_sel:WORD_1
	v_fma_f16 v3, v3, v8, v5
	v_fma_f16 v2, v8, v2, -v7
	v_cvt_f32_f16_e32 v7, v3
	v_cvt_f32_f16_e32 v8, v2
	v_mov_b32_e32 v5, v6
	v_lshl_add_u64 v[2:3], v[4:5], 2, v[0:1]
	v_cvt_f64_f32_e32 v[4:5], v7
	v_cvt_f64_f32_e32 v[6:7], v8
	v_mul_f64 v[4:5], v[4:5], s[6:7]
	v_mul_f64 v[6:7], v[6:7], s[6:7]
	v_and_or_b32 v4, v5, s16, v4
	v_and_or_b32 v6, v7, s16, v6
	v_cmp_ne_u32_e32 vcc, 0, v4
	v_lshrrev_b32_e32 v8, 8, v5
	v_bfe_u32 v9, v5, 20, 11
	v_cndmask_b32_e64 v4, 0, 1, vcc
	v_cmp_ne_u32_e32 vcc, 0, v6
	v_lshrrev_b32_e32 v10, 8, v7
	v_bfe_u32 v11, v7, 20, 11
	v_sub_u32_e32 v12, 0x3f1, v9
	v_cndmask_b32_e64 v6, 0, 1, vcc
	v_and_or_b32 v4, v8, s15, v4
	v_sub_u32_e32 v15, 0x3f1, v11
	v_med3_i32 v8, v12, 0, 13
	v_and_or_b32 v6, v10, s15, v6
	v_or_b32_e32 v12, 0x1000, v4
	v_add_u32_e32 v9, 0xfffffc10, v9
	v_med3_i32 v10, v15, 0, 13
	v_cmp_ne_u32_e32 vcc, 0, v4
	v_or_b32_e32 v16, 0x1000, v6
	v_lshrrev_b32_e32 v18, v8, v12
	v_add_u32_e32 v11, 0xfffffc10, v11
	v_lshl_or_b32 v15, v9, 12, v4
	v_cndmask_b32_e64 v4, 0, 1, vcc
	v_cmp_ne_u32_e32 vcc, 0, v6
	v_lshrrev_b32_e32 v20, v10, v16
	v_lshlrev_b32_e32 v8, v8, v18
	v_lshl_or_b32 v17, v11, 12, v6
	v_cndmask_b32_e64 v6, 0, 1, vcc
	v_lshlrev_b32_e32 v10, v10, v20
	v_cmp_ne_u32_e32 vcc, v8, v12
	v_lshl_or_b32 v4, v4, 9, v13
	v_lshl_or_b32 v6, v6, 9, v13
	v_cndmask_b32_e64 v8, 0, 1, vcc
	v_cmp_ne_u32_e32 vcc, v10, v16
	v_or_b32_e32 v8, v18, v8
	v_and_b32_sdwa v5, v5, s14 dst_sel:DWORD dst_unused:UNUSED_PAD src0_sel:WORD_1 src1_sel:DWORD
	v_cndmask_b32_e64 v10, 0, 1, vcc
	v_cmp_gt_i32_e32 vcc, 1, v9
	v_or_b32_e32 v10, v20, v10
	v_lshrrev_b32_e32 v7, 16, v7
	v_cndmask_b32_e32 v8, v15, v8, vcc
	v_cmp_gt_i32_e32 vcc, 1, v11
	v_and_b32_e32 v12, 7, v8
	v_cmp_eq_u32_e64 s[0:1], 3, v12
	v_cndmask_b32_e32 v10, v17, v10, vcc
	v_cmp_lt_i32_e32 vcc, 5, v12
	v_lshrrev_b32_e32 v8, 2, v8
	v_and_b32_e32 v15, 7, v10
	s_or_b64 vcc, s[0:1], vcc
	v_cmp_lt_i32_e64 s[2:3], 5, v15
	v_cmp_eq_u32_e64 s[4:5], 3, v15
	v_addc_co_u32_e32 v8, vcc, 0, v8, vcc
	v_lshrrev_b32_e32 v10, 2, v10
	s_or_b64 vcc, s[4:5], s[2:3]
	v_addc_co_u32_e32 v10, vcc, 0, v10, vcc
	v_cmp_gt_i32_e32 vcc, 31, v9
	v_or_b32_e32 v15, 0x240, v28
	s_nop 0
	v_cndmask_b32_e32 v8, v13, v8, vcc
	v_cmp_gt_i32_e32 vcc, 31, v11
	s_nop 1
	v_cndmask_b32_e32 v10, v13, v10, vcc
	v_cmp_eq_u32_e32 vcc, s10, v9
	s_nop 1
	v_cndmask_b32_e32 v4, v8, v4, vcc
	v_cmp_eq_u32_e32 vcc, s10, v11
	v_bitop3_b32 v4, v5, s17, v4 bitop3:0xc8
	s_nop 0
	v_cndmask_b32_e32 v6, v10, v6, vcc
	v_and_or_b32 v6, v7, s14, v6
	v_lshl_or_b32 v4, v6, 16, v4
	global_store_dword v[2:3], v4, off
	global_load_dword v12, v19, s[12:13] offset:2304
	v_mad_u64_u32 v[10:11], s[0:1], s8, v15, 0
	ds_read2st64_b32 v[8:9], v14 offset0:9 offset1:10
	ds_read2st64_b32 v[4:5], v14 offset0:11 offset1:12
	;; [unrolled: 1-line block ×4, first 2 shown]
	v_mov_b32_e32 v14, v11
	v_mad_u64_u32 v[14:15], s[0:1], s9, v15, v[14:15]
	s_waitcnt lgkmcnt(3)
	v_lshrrev_b32_e32 v11, 16, v8
	s_waitcnt vmcnt(0)
	v_mul_f16_sdwa v15, v11, v12 dst_sel:DWORD dst_unused:UNUSED_PAD src0_sel:DWORD src1_sel:WORD_1
	v_mul_f16_sdwa v16, v8, v12 dst_sel:DWORD dst_unused:UNUSED_PAD src0_sel:DWORD src1_sel:WORD_1
	v_fma_f16 v8, v8, v12, v15
	v_fma_f16 v11, v12, v11, -v16
	v_cvt_f32_f16_e32 v8, v8
	v_cvt_f32_f16_e32 v12, v11
	v_mov_b32_e32 v11, v14
	v_lshl_add_u64 v[10:11], v[10:11], 2, v[0:1]
	v_cvt_f64_f32_e32 v[14:15], v8
	v_cvt_f64_f32_e32 v[16:17], v12
	v_mul_f64 v[14:15], v[14:15], s[6:7]
	v_mul_f64 v[16:17], v[16:17], s[6:7]
	v_and_or_b32 v8, v15, s16, v14
	v_and_or_b32 v16, v17, s16, v16
	v_cmp_ne_u32_e32 vcc, 0, v8
	v_lshrrev_b32_e32 v12, 8, v15
	v_bfe_u32 v14, v15, 20, 11
	v_cndmask_b32_e64 v8, 0, 1, vcc
	v_cmp_ne_u32_e32 vcc, 0, v16
	v_lshrrev_b32_e32 v18, 8, v17
	v_bfe_u32 v20, v17, 20, 11
	v_sub_u32_e32 v21, 0x3f1, v14
	v_cndmask_b32_e64 v16, 0, 1, vcc
	v_and_or_b32 v8, v12, s15, v8
	v_sub_u32_e32 v22, 0x3f1, v20
	v_med3_i32 v12, v21, 0, 13
	v_and_or_b32 v16, v18, s15, v16
	v_or_b32_e32 v21, 0x1000, v8
	v_add_u32_e32 v14, 0xfffffc10, v14
	v_med3_i32 v18, v22, 0, 13
	v_cmp_ne_u32_e32 vcc, 0, v8
	v_or_b32_e32 v23, 0x1000, v16
	v_lshrrev_b32_e32 v25, v12, v21
	v_add_u32_e32 v20, 0xfffffc10, v20
	v_lshl_or_b32 v22, v14, 12, v8
	v_cndmask_b32_e64 v8, 0, 1, vcc
	v_cmp_ne_u32_e32 vcc, 0, v16
	v_lshrrev_b32_e32 v26, v18, v23
	v_lshlrev_b32_e32 v12, v12, v25
	v_lshl_or_b32 v24, v20, 12, v16
	v_cndmask_b32_e64 v16, 0, 1, vcc
	v_lshlrev_b32_e32 v18, v18, v26
	v_cmp_ne_u32_e32 vcc, v12, v21
	v_lshl_or_b32 v8, v8, 9, v13
	v_lshl_or_b32 v16, v16, 9, v13
	v_cndmask_b32_e64 v12, 0, 1, vcc
	v_cmp_ne_u32_e32 vcc, v18, v23
	v_or_b32_e32 v12, v25, v12
	v_and_b32_sdwa v15, v15, s14 dst_sel:DWORD dst_unused:UNUSED_PAD src0_sel:WORD_1 src1_sel:DWORD
	v_cndmask_b32_e64 v18, 0, 1, vcc
	v_cmp_gt_i32_e32 vcc, 1, v14
	v_or_b32_e32 v18, v26, v18
	v_lshrrev_b32_e32 v17, 16, v17
	v_cndmask_b32_e32 v12, v22, v12, vcc
	v_cmp_gt_i32_e32 vcc, 1, v20
	v_and_b32_e32 v21, 7, v12
	v_cmp_eq_u32_e64 s[0:1], 3, v21
	v_cndmask_b32_e32 v18, v24, v18, vcc
	v_cmp_lt_i32_e32 vcc, 5, v21
	v_lshrrev_b32_e32 v12, 2, v12
	v_and_b32_e32 v22, 7, v18
	s_or_b64 vcc, s[0:1], vcc
	v_cmp_lt_i32_e64 s[2:3], 5, v22
	v_cmp_eq_u32_e64 s[4:5], 3, v22
	v_addc_co_u32_e32 v12, vcc, 0, v12, vcc
	v_lshrrev_b32_e32 v18, 2, v18
	s_or_b64 vcc, s[4:5], s[2:3]
	v_addc_co_u32_e32 v18, vcc, 0, v18, vcc
	v_cmp_gt_i32_e32 vcc, 31, v14
	s_nop 1
	v_cndmask_b32_e32 v12, v13, v12, vcc
	v_cmp_gt_i32_e32 vcc, 31, v20
	s_nop 1
	v_cndmask_b32_e32 v18, v13, v18, vcc
	v_cmp_eq_u32_e32 vcc, s10, v14
	v_or_b32_e32 v14, 0x280, v28
	s_nop 0
	v_cndmask_b32_e32 v8, v12, v8, vcc
	v_cmp_eq_u32_e32 vcc, s10, v20
	v_bitop3_b32 v8, v15, s17, v8 bitop3:0xc8
	s_nop 0
	v_cndmask_b32_e32 v12, v18, v16, vcc
	v_and_or_b32 v12, v17, s14, v12
	v_lshl_or_b32 v8, v12, 16, v8
	global_store_dword v[10:11], v8, off
	global_load_dword v12, v19, s[12:13] offset:2560
	v_mad_u64_u32 v[10:11], s[0:1], s8, v14, 0
	v_mov_b32_e32 v8, v11
	v_mad_u64_u32 v[14:15], s[0:1], s9, v14, v[8:9]
	v_lshrrev_b32_e32 v8, 16, v9
	s_waitcnt vmcnt(0)
	v_mul_f16_sdwa v11, v8, v12 dst_sel:DWORD dst_unused:UNUSED_PAD src0_sel:DWORD src1_sel:WORD_1
	v_mul_f16_sdwa v15, v9, v12 dst_sel:DWORD dst_unused:UNUSED_PAD src0_sel:DWORD src1_sel:WORD_1
	v_fma_f16 v9, v9, v12, v11
	v_fma_f16 v8, v12, v8, -v15
	v_cvt_f32_f16_e32 v12, v9
	v_cvt_f32_f16_e32 v15, v8
	v_mov_b32_e32 v11, v14
	v_lshl_add_u64 v[8:9], v[10:11], 2, v[0:1]
	v_cvt_f64_f32_e32 v[10:11], v12
	v_cvt_f64_f32_e32 v[14:15], v15
	v_mul_f64 v[10:11], v[10:11], s[6:7]
	v_mul_f64 v[14:15], v[14:15], s[6:7]
	v_and_or_b32 v10, v11, s16, v10
	v_and_or_b32 v14, v15, s16, v14
	v_cmp_ne_u32_e32 vcc, 0, v10
	v_lshrrev_b32_e32 v12, 8, v11
	v_bfe_u32 v16, v11, 20, 11
	v_cndmask_b32_e64 v10, 0, 1, vcc
	v_cmp_ne_u32_e32 vcc, 0, v14
	v_lshrrev_b32_e32 v17, 8, v15
	v_bfe_u32 v18, v15, 20, 11
	v_sub_u32_e32 v20, 0x3f1, v16
	v_cndmask_b32_e64 v14, 0, 1, vcc
	v_and_or_b32 v10, v12, s15, v10
	v_sub_u32_e32 v21, 0x3f1, v18
	v_med3_i32 v12, v20, 0, 13
	v_and_or_b32 v14, v17, s15, v14
	v_or_b32_e32 v20, 0x1000, v10
	v_add_u32_e32 v16, 0xfffffc10, v16
	v_med3_i32 v17, v21, 0, 13
	v_cmp_ne_u32_e32 vcc, 0, v10
	v_or_b32_e32 v22, 0x1000, v14
	v_lshrrev_b32_e32 v24, v12, v20
	v_add_u32_e32 v18, 0xfffffc10, v18
	v_lshl_or_b32 v21, v16, 12, v10
	v_cndmask_b32_e64 v10, 0, 1, vcc
	v_cmp_ne_u32_e32 vcc, 0, v14
	v_lshrrev_b32_e32 v25, v17, v22
	v_lshlrev_b32_e32 v12, v12, v24
	v_lshl_or_b32 v23, v18, 12, v14
	v_cndmask_b32_e64 v14, 0, 1, vcc
	v_lshlrev_b32_e32 v17, v17, v25
	v_cmp_ne_u32_e32 vcc, v12, v20
	v_lshl_or_b32 v10, v10, 9, v13
	v_lshl_or_b32 v14, v14, 9, v13
	v_cndmask_b32_e64 v12, 0, 1, vcc
	v_cmp_ne_u32_e32 vcc, v17, v22
	v_or_b32_e32 v12, v24, v12
	v_and_b32_sdwa v11, v11, s14 dst_sel:DWORD dst_unused:UNUSED_PAD src0_sel:WORD_1 src1_sel:DWORD
	v_cndmask_b32_e64 v17, 0, 1, vcc
	v_cmp_gt_i32_e32 vcc, 1, v16
	v_or_b32_e32 v17, v25, v17
	v_lshrrev_b32_e32 v15, 16, v15
	v_cndmask_b32_e32 v12, v21, v12, vcc
	v_cmp_gt_i32_e32 vcc, 1, v18
	v_and_b32_e32 v20, 7, v12
	v_cmp_eq_u32_e64 s[0:1], 3, v20
	v_cndmask_b32_e32 v17, v23, v17, vcc
	v_cmp_lt_i32_e32 vcc, 5, v20
	v_lshrrev_b32_e32 v12, 2, v12
	v_and_b32_e32 v21, 7, v17
	s_or_b64 vcc, s[0:1], vcc
	v_cmp_lt_i32_e64 s[2:3], 5, v21
	v_cmp_eq_u32_e64 s[4:5], 3, v21
	v_addc_co_u32_e32 v12, vcc, 0, v12, vcc
	v_lshrrev_b32_e32 v17, 2, v17
	s_or_b64 vcc, s[4:5], s[2:3]
	v_addc_co_u32_e32 v17, vcc, 0, v17, vcc
	v_cmp_gt_i32_e32 vcc, 31, v16
	s_nop 1
	v_cndmask_b32_e32 v12, v13, v12, vcc
	v_cmp_gt_i32_e32 vcc, 31, v18
	s_nop 1
	v_cndmask_b32_e32 v17, v13, v17, vcc
	v_cmp_eq_u32_e32 vcc, s10, v16
	s_nop 1
	v_cndmask_b32_e32 v10, v12, v10, vcc
	v_cmp_eq_u32_e32 vcc, s10, v18
	v_bitop3_b32 v10, v11, s17, v10 bitop3:0xc8
	v_or_b32_e32 v11, 0x2c0, v28
	v_cndmask_b32_e32 v12, v17, v14, vcc
	v_and_or_b32 v12, v15, s14, v12
	v_lshl_or_b32 v10, v12, 16, v10
	global_store_dword v[8:9], v10, off
	global_load_dword v12, v19, s[12:13] offset:2816
	v_mad_u64_u32 v[8:9], s[0:1], s8, v11, 0
	v_mov_b32_e32 v10, v9
	v_mad_u64_u32 v[10:11], s[0:1], s9, v11, v[10:11]
	s_waitcnt lgkmcnt(2)
	v_lshrrev_b32_e32 v9, 16, v4
	s_waitcnt vmcnt(0)
	v_mul_f16_sdwa v11, v9, v12 dst_sel:DWORD dst_unused:UNUSED_PAD src0_sel:DWORD src1_sel:WORD_1
	v_mul_f16_sdwa v14, v4, v12 dst_sel:DWORD dst_unused:UNUSED_PAD src0_sel:DWORD src1_sel:WORD_1
	v_fma_f16 v4, v4, v12, v11
	v_fma_f16 v9, v12, v9, -v14
	v_cvt_f32_f16_e32 v4, v4
	v_cvt_f32_f16_e32 v12, v9
	v_mov_b32_e32 v9, v10
	v_lshl_add_u64 v[8:9], v[8:9], 2, v[0:1]
	v_cvt_f64_f32_e32 v[10:11], v4
	v_cvt_f64_f32_e32 v[14:15], v12
	v_mul_f64 v[10:11], v[10:11], s[6:7]
	v_mul_f64 v[14:15], v[14:15], s[6:7]
	v_and_or_b32 v4, v11, s16, v10
	v_and_or_b32 v14, v15, s16, v14
	v_cmp_ne_u32_e32 vcc, 0, v4
	v_lshrrev_b32_e32 v10, 8, v11
	v_bfe_u32 v12, v11, 20, 11
	v_cndmask_b32_e64 v4, 0, 1, vcc
	v_cmp_ne_u32_e32 vcc, 0, v14
	v_lshrrev_b32_e32 v16, 8, v15
	v_bfe_u32 v17, v15, 20, 11
	v_sub_u32_e32 v18, 0x3f1, v12
	v_cndmask_b32_e64 v14, 0, 1, vcc
	v_and_or_b32 v4, v10, s15, v4
	v_sub_u32_e32 v20, 0x3f1, v17
	v_med3_i32 v10, v18, 0, 13
	v_and_or_b32 v14, v16, s15, v14
	v_or_b32_e32 v18, 0x1000, v4
	v_add_u32_e32 v12, 0xfffffc10, v12
	v_med3_i32 v16, v20, 0, 13
	v_cmp_ne_u32_e32 vcc, 0, v4
	v_or_b32_e32 v21, 0x1000, v14
	v_lshrrev_b32_e32 v23, v10, v18
	v_add_u32_e32 v17, 0xfffffc10, v17
	v_lshl_or_b32 v20, v12, 12, v4
	v_cndmask_b32_e64 v4, 0, 1, vcc
	v_cmp_ne_u32_e32 vcc, 0, v14
	v_lshrrev_b32_e32 v24, v16, v21
	v_lshlrev_b32_e32 v10, v10, v23
	v_lshl_or_b32 v22, v17, 12, v14
	v_cndmask_b32_e64 v14, 0, 1, vcc
	v_lshlrev_b32_e32 v16, v16, v24
	v_cmp_ne_u32_e32 vcc, v10, v18
	v_lshl_or_b32 v4, v4, 9, v13
	v_lshl_or_b32 v14, v14, 9, v13
	v_cndmask_b32_e64 v10, 0, 1, vcc
	v_cmp_ne_u32_e32 vcc, v16, v21
	v_or_b32_e32 v10, v23, v10
	v_and_b32_sdwa v11, v11, s14 dst_sel:DWORD dst_unused:UNUSED_PAD src0_sel:WORD_1 src1_sel:DWORD
	v_cndmask_b32_e64 v16, 0, 1, vcc
	v_cmp_gt_i32_e32 vcc, 1, v12
	v_or_b32_e32 v16, v24, v16
	v_lshrrev_b32_e32 v15, 16, v15
	v_cndmask_b32_e32 v10, v20, v10, vcc
	v_cmp_gt_i32_e32 vcc, 1, v17
	v_and_b32_e32 v18, 7, v10
	v_cmp_eq_u32_e64 s[0:1], 3, v18
	v_cndmask_b32_e32 v16, v22, v16, vcc
	v_cmp_lt_i32_e32 vcc, 5, v18
	v_lshrrev_b32_e32 v10, 2, v10
	v_and_b32_e32 v20, 7, v16
	s_or_b64 vcc, s[0:1], vcc
	v_cmp_lt_i32_e64 s[2:3], 5, v20
	v_cmp_eq_u32_e64 s[4:5], 3, v20
	v_addc_co_u32_e32 v10, vcc, 0, v10, vcc
	v_lshrrev_b32_e32 v16, 2, v16
	s_or_b64 vcc, s[4:5], s[2:3]
	v_addc_co_u32_e32 v16, vcc, 0, v16, vcc
	v_cmp_gt_i32_e32 vcc, 31, v12
	s_nop 1
	v_cndmask_b32_e32 v10, v13, v10, vcc
	v_cmp_gt_i32_e32 vcc, 31, v17
	s_nop 1
	v_cndmask_b32_e32 v16, v13, v16, vcc
	v_cmp_eq_u32_e32 vcc, s10, v12
	s_nop 1
	v_cndmask_b32_e32 v4, v10, v4, vcc
	v_cmp_eq_u32_e32 vcc, s10, v17
	v_bitop3_b32 v4, v11, s17, v4 bitop3:0xc8
	s_nop 0
	v_cndmask_b32_e32 v10, v16, v14, vcc
	v_and_or_b32 v10, v15, s14, v10
	v_lshl_or_b32 v4, v10, 16, v4
	global_store_dword v[8:9], v4, off
	global_load_dword v12, v19, s[12:13] offset:3072
	v_or_b32_e32 v10, 0x300, v28
	v_mad_u64_u32 v[8:9], s[0:1], s8, v10, 0
	v_mov_b32_e32 v4, v9
	v_mad_u64_u32 v[10:11], s[0:1], s9, v10, v[4:5]
	v_lshrrev_b32_e32 v4, 16, v5
	s_waitcnt vmcnt(0)
	v_mul_f16_sdwa v9, v4, v12 dst_sel:DWORD dst_unused:UNUSED_PAD src0_sel:DWORD src1_sel:WORD_1
	v_mul_f16_sdwa v11, v5, v12 dst_sel:DWORD dst_unused:UNUSED_PAD src0_sel:DWORD src1_sel:WORD_1
	v_fma_f16 v5, v5, v12, v9
	v_fma_f16 v4, v12, v4, -v11
	v_cvt_f32_f16_e32 v11, v5
	v_cvt_f32_f16_e32 v12, v4
	v_mov_b32_e32 v9, v10
	v_lshl_add_u64 v[4:5], v[8:9], 2, v[0:1]
	v_cvt_f64_f32_e32 v[8:9], v11
	v_cvt_f64_f32_e32 v[10:11], v12
	v_mul_f64 v[8:9], v[8:9], s[6:7]
	v_mul_f64 v[10:11], v[10:11], s[6:7]
	v_and_or_b32 v8, v9, s16, v8
	v_and_or_b32 v10, v11, s16, v10
	v_cmp_ne_u32_e32 vcc, 0, v8
	v_lshrrev_b32_e32 v12, 8, v9
	v_bfe_u32 v14, v9, 20, 11
	v_cndmask_b32_e64 v8, 0, 1, vcc
	v_cmp_ne_u32_e32 vcc, 0, v10
	v_lshrrev_b32_e32 v15, 8, v11
	v_bfe_u32 v16, v11, 20, 11
	v_sub_u32_e32 v17, 0x3f1, v14
	v_cndmask_b32_e64 v10, 0, 1, vcc
	v_and_or_b32 v8, v12, s15, v8
	v_sub_u32_e32 v18, 0x3f1, v16
	v_med3_i32 v12, v17, 0, 13
	v_and_or_b32 v10, v15, s15, v10
	v_or_b32_e32 v17, 0x1000, v8
	v_add_u32_e32 v14, 0xfffffc10, v14
	v_med3_i32 v15, v18, 0, 13
	v_cmp_ne_u32_e32 vcc, 0, v8
	v_or_b32_e32 v20, 0x1000, v10
	v_lshrrev_b32_e32 v22, v12, v17
	v_add_u32_e32 v16, 0xfffffc10, v16
	v_lshl_or_b32 v18, v14, 12, v8
	v_cndmask_b32_e64 v8, 0, 1, vcc
	v_cmp_ne_u32_e32 vcc, 0, v10
	v_lshrrev_b32_e32 v23, v15, v20
	v_lshlrev_b32_e32 v12, v12, v22
	v_lshl_or_b32 v21, v16, 12, v10
	v_cndmask_b32_e64 v10, 0, 1, vcc
	v_lshlrev_b32_e32 v15, v15, v23
	v_cmp_ne_u32_e32 vcc, v12, v17
	v_lshl_or_b32 v8, v8, 9, v13
	v_lshl_or_b32 v10, v10, 9, v13
	v_cndmask_b32_e64 v12, 0, 1, vcc
	v_cmp_ne_u32_e32 vcc, v15, v20
	v_or_b32_e32 v12, v22, v12
	v_and_b32_sdwa v9, v9, s14 dst_sel:DWORD dst_unused:UNUSED_PAD src0_sel:WORD_1 src1_sel:DWORD
	v_cndmask_b32_e64 v15, 0, 1, vcc
	v_cmp_gt_i32_e32 vcc, 1, v14
	v_or_b32_e32 v15, v23, v15
	v_lshrrev_b32_e32 v11, 16, v11
	v_cndmask_b32_e32 v12, v18, v12, vcc
	v_cmp_gt_i32_e32 vcc, 1, v16
	v_and_b32_e32 v17, 7, v12
	v_cmp_eq_u32_e64 s[0:1], 3, v17
	v_cndmask_b32_e32 v15, v21, v15, vcc
	v_cmp_lt_i32_e32 vcc, 5, v17
	v_lshrrev_b32_e32 v12, 2, v12
	v_and_b32_e32 v18, 7, v15
	s_or_b64 vcc, s[0:1], vcc
	v_cmp_lt_i32_e64 s[2:3], 5, v18
	v_cmp_eq_u32_e64 s[4:5], 3, v18
	v_addc_co_u32_e32 v12, vcc, 0, v12, vcc
	v_lshrrev_b32_e32 v15, 2, v15
	s_or_b64 vcc, s[4:5], s[2:3]
	v_addc_co_u32_e32 v15, vcc, 0, v15, vcc
	v_cmp_gt_i32_e32 vcc, 31, v14
	s_nop 1
	v_cndmask_b32_e32 v12, v13, v12, vcc
	v_cmp_gt_i32_e32 vcc, 31, v16
	s_nop 1
	v_cndmask_b32_e32 v15, v13, v15, vcc
	v_cmp_eq_u32_e32 vcc, s10, v14
	s_nop 1
	v_cndmask_b32_e32 v8, v12, v8, vcc
	v_cmp_eq_u32_e32 vcc, s10, v16
	v_bitop3_b32 v8, v9, s17, v8 bitop3:0xc8
	v_or_b32_e32 v9, 0x340, v28
	v_cndmask_b32_e32 v10, v15, v10, vcc
	v_and_or_b32 v10, v11, s14, v10
	v_lshl_or_b32 v8, v10, 16, v8
	global_store_dword v[4:5], v8, off
	global_load_dword v10, v19, s[12:13] offset:3328
	v_mad_u64_u32 v[4:5], s[0:1], s8, v9, 0
	v_mov_b32_e32 v8, v5
	v_mad_u64_u32 v[8:9], s[0:1], s9, v9, v[8:9]
	s_waitcnt lgkmcnt(1)
	v_lshrrev_b32_e32 v5, 16, v6
	s_waitcnt vmcnt(0)
	v_mul_f16_sdwa v9, v5, v10 dst_sel:DWORD dst_unused:UNUSED_PAD src0_sel:DWORD src1_sel:WORD_1
	v_mul_f16_sdwa v11, v6, v10 dst_sel:DWORD dst_unused:UNUSED_PAD src0_sel:DWORD src1_sel:WORD_1
	v_fma_f16 v6, v6, v10, v9
	v_fma_f16 v5, v10, v5, -v11
	v_cvt_f32_f16_e32 v6, v6
	v_cvt_f32_f16_e32 v10, v5
	v_mov_b32_e32 v5, v8
	v_lshl_add_u64 v[4:5], v[4:5], 2, v[0:1]
	v_cvt_f64_f32_e32 v[8:9], v6
	v_cvt_f64_f32_e32 v[10:11], v10
	v_mul_f64 v[8:9], v[8:9], s[6:7]
	v_mul_f64 v[10:11], v[10:11], s[6:7]
	v_and_or_b32 v6, v9, s16, v8
	v_and_or_b32 v10, v11, s16, v10
	v_cmp_ne_u32_e32 vcc, 0, v6
	v_lshrrev_b32_e32 v8, 8, v9
	v_bfe_u32 v12, v9, 20, 11
	v_cndmask_b32_e64 v6, 0, 1, vcc
	v_cmp_ne_u32_e32 vcc, 0, v10
	v_lshrrev_b32_e32 v14, 8, v11
	v_bfe_u32 v15, v11, 20, 11
	v_sub_u32_e32 v16, 0x3f1, v12
	v_cndmask_b32_e64 v10, 0, 1, vcc
	v_and_or_b32 v6, v8, s15, v6
	v_sub_u32_e32 v17, 0x3f1, v15
	v_med3_i32 v8, v16, 0, 13
	v_and_or_b32 v10, v14, s15, v10
	v_or_b32_e32 v16, 0x1000, v6
	v_add_u32_e32 v12, 0xfffffc10, v12
	v_med3_i32 v14, v17, 0, 13
	v_cmp_ne_u32_e32 vcc, 0, v6
	v_or_b32_e32 v18, 0x1000, v10
	v_lshrrev_b32_e32 v21, v8, v16
	v_add_u32_e32 v15, 0xfffffc10, v15
	v_lshl_or_b32 v17, v12, 12, v6
	v_cndmask_b32_e64 v6, 0, 1, vcc
	v_cmp_ne_u32_e32 vcc, 0, v10
	v_lshrrev_b32_e32 v22, v14, v18
	v_lshlrev_b32_e32 v8, v8, v21
	v_lshl_or_b32 v20, v15, 12, v10
	v_cndmask_b32_e64 v10, 0, 1, vcc
	v_lshlrev_b32_e32 v14, v14, v22
	v_cmp_ne_u32_e32 vcc, v8, v16
	v_lshl_or_b32 v6, v6, 9, v13
	v_lshl_or_b32 v10, v10, 9, v13
	v_cndmask_b32_e64 v8, 0, 1, vcc
	v_cmp_ne_u32_e32 vcc, v14, v18
	v_or_b32_e32 v8, v21, v8
	v_and_b32_sdwa v9, v9, s14 dst_sel:DWORD dst_unused:UNUSED_PAD src0_sel:WORD_1 src1_sel:DWORD
	v_cndmask_b32_e64 v14, 0, 1, vcc
	v_cmp_gt_i32_e32 vcc, 1, v12
	v_or_b32_e32 v14, v22, v14
	v_lshrrev_b32_e32 v11, 16, v11
	v_cndmask_b32_e32 v8, v17, v8, vcc
	v_cmp_gt_i32_e32 vcc, 1, v15
	v_and_b32_e32 v16, 7, v8
	v_cmp_eq_u32_e64 s[0:1], 3, v16
	v_cndmask_b32_e32 v14, v20, v14, vcc
	v_cmp_lt_i32_e32 vcc, 5, v16
	v_lshrrev_b32_e32 v8, 2, v8
	v_and_b32_e32 v17, 7, v14
	s_or_b64 vcc, s[0:1], vcc
	v_cmp_lt_i32_e64 s[2:3], 5, v17
	v_cmp_eq_u32_e64 s[4:5], 3, v17
	v_addc_co_u32_e32 v8, vcc, 0, v8, vcc
	v_lshrrev_b32_e32 v14, 2, v14
	s_or_b64 vcc, s[4:5], s[2:3]
	v_addc_co_u32_e32 v14, vcc, 0, v14, vcc
	v_cmp_gt_i32_e32 vcc, 31, v12
	s_nop 1
	v_cndmask_b32_e32 v8, v13, v8, vcc
	v_cmp_gt_i32_e32 vcc, 31, v15
	s_nop 1
	v_cndmask_b32_e32 v14, v13, v14, vcc
	v_cmp_eq_u32_e32 vcc, s10, v12
	s_nop 1
	v_cndmask_b32_e32 v6, v8, v6, vcc
	v_cmp_eq_u32_e32 vcc, s10, v15
	v_bitop3_b32 v6, v9, s17, v6 bitop3:0xc8
	s_nop 0
	v_cndmask_b32_e32 v8, v14, v10, vcc
	v_and_or_b32 v8, v11, s14, v8
	v_lshl_or_b32 v6, v8, 16, v6
	global_store_dword v[4:5], v6, off
	global_load_dword v10, v19, s[12:13] offset:3584
	v_or_b32_e32 v8, 0x380, v28
	v_mad_u64_u32 v[4:5], s[0:1], s8, v8, 0
	v_mov_b32_e32 v6, v5
	v_lshrrev_b32_e32 v5, 16, v7
	v_mad_u64_u32 v[8:9], s[0:1], s9, v8, v[6:7]
	s_waitcnt vmcnt(0)
	v_mul_f16_sdwa v6, v5, v10 dst_sel:DWORD dst_unused:UNUSED_PAD src0_sel:DWORD src1_sel:WORD_1
	v_mul_f16_sdwa v9, v7, v10 dst_sel:DWORD dst_unused:UNUSED_PAD src0_sel:DWORD src1_sel:WORD_1
	v_fma_f16 v6, v7, v10, v6
	v_fma_f16 v5, v10, v5, -v9
	v_cvt_f32_f16_e32 v6, v6
	v_cvt_f32_f16_e32 v9, v5
	v_mov_b32_e32 v5, v8
	v_lshl_add_u64 v[4:5], v[4:5], 2, v[0:1]
	v_cvt_f64_f32_e32 v[6:7], v6
	v_cvt_f64_f32_e32 v[8:9], v9
	v_mul_f64 v[6:7], v[6:7], s[6:7]
	v_mul_f64 v[8:9], v[8:9], s[6:7]
	v_and_or_b32 v6, v7, s16, v6
	v_and_or_b32 v8, v9, s16, v8
	v_cmp_ne_u32_e32 vcc, 0, v6
	v_lshrrev_b32_e32 v10, 8, v7
	v_bfe_u32 v11, v7, 20, 11
	v_cndmask_b32_e64 v6, 0, 1, vcc
	v_cmp_ne_u32_e32 vcc, 0, v8
	v_lshrrev_b32_e32 v12, 8, v9
	v_bfe_u32 v14, v9, 20, 11
	v_sub_u32_e32 v15, 0x3f1, v11
	v_cndmask_b32_e64 v8, 0, 1, vcc
	v_and_or_b32 v6, v10, s15, v6
	v_sub_u32_e32 v16, 0x3f1, v14
	v_med3_i32 v10, v15, 0, 13
	v_and_or_b32 v8, v12, s15, v8
	v_or_b32_e32 v15, 0x1000, v6
	v_add_u32_e32 v11, 0xfffffc10, v11
	v_med3_i32 v12, v16, 0, 13
	v_cmp_ne_u32_e32 vcc, 0, v6
	v_or_b32_e32 v17, 0x1000, v8
	v_lshrrev_b32_e32 v20, v10, v15
	v_add_u32_e32 v14, 0xfffffc10, v14
	v_lshl_or_b32 v16, v11, 12, v6
	v_cndmask_b32_e64 v6, 0, 1, vcc
	v_cmp_ne_u32_e32 vcc, 0, v8
	v_lshrrev_b32_e32 v21, v12, v17
	v_lshlrev_b32_e32 v10, v10, v20
	v_lshl_or_b32 v18, v14, 12, v8
	v_cndmask_b32_e64 v8, 0, 1, vcc
	v_lshlrev_b32_e32 v12, v12, v21
	v_cmp_ne_u32_e32 vcc, v10, v15
	v_lshl_or_b32 v6, v6, 9, v13
	v_lshl_or_b32 v8, v8, 9, v13
	v_cndmask_b32_e64 v10, 0, 1, vcc
	v_cmp_ne_u32_e32 vcc, v12, v17
	v_or_b32_e32 v10, v20, v10
	v_and_b32_sdwa v7, v7, s14 dst_sel:DWORD dst_unused:UNUSED_PAD src0_sel:WORD_1 src1_sel:DWORD
	v_cndmask_b32_e64 v12, 0, 1, vcc
	v_cmp_gt_i32_e32 vcc, 1, v11
	v_or_b32_e32 v12, v21, v12
	v_lshrrev_b32_e32 v9, 16, v9
	v_cndmask_b32_e32 v10, v16, v10, vcc
	v_cmp_gt_i32_e32 vcc, 1, v14
	v_and_b32_e32 v15, 7, v10
	v_cmp_eq_u32_e64 s[0:1], 3, v15
	v_cndmask_b32_e32 v12, v18, v12, vcc
	v_cmp_lt_i32_e32 vcc, 5, v15
	v_lshrrev_b32_e32 v10, 2, v10
	v_and_b32_e32 v16, 7, v12
	s_or_b64 vcc, s[0:1], vcc
	v_cmp_lt_i32_e64 s[2:3], 5, v16
	v_cmp_eq_u32_e64 s[4:5], 3, v16
	v_addc_co_u32_e32 v10, vcc, 0, v10, vcc
	v_lshrrev_b32_e32 v12, 2, v12
	s_or_b64 vcc, s[4:5], s[2:3]
	v_addc_co_u32_e32 v12, vcc, 0, v12, vcc
	v_cmp_gt_i32_e32 vcc, 31, v11
	s_nop 1
	v_cndmask_b32_e32 v10, v13, v10, vcc
	v_cmp_gt_i32_e32 vcc, 31, v14
	s_nop 1
	v_cndmask_b32_e32 v12, v13, v12, vcc
	v_cmp_eq_u32_e32 vcc, s10, v11
	s_nop 1
	v_cndmask_b32_e32 v6, v10, v6, vcc
	v_cmp_eq_u32_e32 vcc, s10, v14
	v_bitop3_b32 v6, v7, s17, v6 bitop3:0xc8
	v_or_b32_e32 v7, 0x3c0, v28
	v_cndmask_b32_e32 v8, v12, v8, vcc
	v_and_or_b32 v8, v9, s14, v8
	v_lshl_or_b32 v6, v8, 16, v6
	global_store_dword v[4:5], v6, off
	global_load_dword v8, v19, s[12:13] offset:3840
	v_mad_u64_u32 v[4:5], s[0:1], s8, v7, 0
	v_mov_b32_e32 v6, v5
	v_mad_u64_u32 v[6:7], s[0:1], s9, v7, v[6:7]
	s_waitcnt lgkmcnt(0)
	v_lshrrev_b32_e32 v5, 16, v2
	v_or_b32_e32 v10, 0x400, v28
	v_lshlrev_b32_e32 v11, 2, v10
	s_waitcnt vmcnt(0)
	v_mul_f16_sdwa v7, v5, v8 dst_sel:DWORD dst_unused:UNUSED_PAD src0_sel:DWORD src1_sel:WORD_1
	v_mul_f16_sdwa v9, v2, v8 dst_sel:DWORD dst_unused:UNUSED_PAD src0_sel:DWORD src1_sel:WORD_1
	v_fma_f16 v2, v2, v8, v7
	v_fma_f16 v5, v8, v5, -v9
	v_cvt_f32_f16_e32 v2, v2
	v_cvt_f32_f16_e32 v8, v5
	v_mov_b32_e32 v5, v6
	v_lshl_add_u64 v[4:5], v[4:5], 2, v[0:1]
	v_cvt_f64_f32_e32 v[6:7], v2
	v_cvt_f64_f32_e32 v[8:9], v8
	v_mul_f64 v[6:7], v[6:7], s[6:7]
	v_mul_f64 v[8:9], v[8:9], s[6:7]
	v_and_or_b32 v2, v7, s16, v6
	v_and_or_b32 v8, v9, s16, v8
	v_cmp_ne_u32_e32 vcc, 0, v2
	v_lshrrev_b32_e32 v6, 8, v7
	v_bfe_u32 v12, v7, 20, 11
	v_cndmask_b32_e64 v2, 0, 1, vcc
	v_cmp_ne_u32_e32 vcc, 0, v8
	v_lshrrev_b32_e32 v14, 8, v9
	v_bfe_u32 v15, v9, 20, 11
	v_sub_u32_e32 v16, 0x3f1, v12
	v_cndmask_b32_e64 v8, 0, 1, vcc
	v_and_or_b32 v2, v6, s15, v2
	v_sub_u32_e32 v17, 0x3f1, v15
	v_med3_i32 v6, v16, 0, 13
	v_and_or_b32 v8, v14, s15, v8
	v_or_b32_e32 v16, 0x1000, v2
	v_add_u32_e32 v12, 0xfffffc10, v12
	v_med3_i32 v14, v17, 0, 13
	v_cmp_ne_u32_e32 vcc, 0, v2
	v_or_b32_e32 v18, 0x1000, v8
	v_lshrrev_b32_e32 v20, v6, v16
	v_add_u32_e32 v15, 0xfffffc10, v15
	v_lshl_or_b32 v17, v12, 12, v2
	v_cndmask_b32_e64 v2, 0, 1, vcc
	v_cmp_ne_u32_e32 vcc, 0, v8
	v_lshrrev_b32_e32 v21, v14, v18
	v_lshlrev_b32_e32 v6, v6, v20
	v_lshl_or_b32 v19, v15, 12, v8
	v_cndmask_b32_e64 v8, 0, 1, vcc
	v_lshlrev_b32_e32 v14, v14, v21
	v_cmp_ne_u32_e32 vcc, v6, v16
	v_lshl_or_b32 v2, v2, 9, v13
	v_lshl_or_b32 v8, v8, 9, v13
	v_cndmask_b32_e64 v6, 0, 1, vcc
	v_cmp_ne_u32_e32 vcc, v14, v18
	v_or_b32_e32 v6, v20, v6
	v_and_b32_sdwa v7, v7, s14 dst_sel:DWORD dst_unused:UNUSED_PAD src0_sel:WORD_1 src1_sel:DWORD
	v_cndmask_b32_e64 v14, 0, 1, vcc
	v_cmp_gt_i32_e32 vcc, 1, v12
	v_or_b32_e32 v14, v21, v14
	v_lshrrev_b32_e32 v9, 16, v9
	v_cndmask_b32_e32 v6, v17, v6, vcc
	v_cmp_gt_i32_e32 vcc, 1, v15
	v_and_b32_e32 v16, 7, v6
	v_cmp_eq_u32_e64 s[0:1], 3, v16
	v_cndmask_b32_e32 v14, v19, v14, vcc
	v_cmp_lt_i32_e32 vcc, 5, v16
	v_lshrrev_b32_e32 v6, 2, v6
	v_and_b32_e32 v17, 7, v14
	s_or_b64 vcc, s[0:1], vcc
	v_cmp_lt_i32_e64 s[2:3], 5, v17
	v_cmp_eq_u32_e64 s[4:5], 3, v17
	v_addc_co_u32_e32 v6, vcc, 0, v6, vcc
	v_lshrrev_b32_e32 v14, 2, v14
	s_or_b64 vcc, s[4:5], s[2:3]
	v_addc_co_u32_e32 v14, vcc, 0, v14, vcc
	v_cmp_gt_i32_e32 vcc, 31, v12
	s_nop 1
	v_cndmask_b32_e32 v6, v13, v6, vcc
	v_cmp_gt_i32_e32 vcc, 31, v15
	s_nop 1
	v_cndmask_b32_e32 v14, v13, v14, vcc
	v_cmp_eq_u32_e32 vcc, s10, v12
	s_nop 1
	v_cndmask_b32_e32 v2, v6, v2, vcc
	v_cmp_eq_u32_e32 vcc, s10, v15
	v_bitop3_b32 v2, v7, s17, v2 bitop3:0xc8
	s_nop 0
	v_cndmask_b32_e32 v6, v14, v8, vcc
	v_and_or_b32 v6, v9, s14, v6
	v_lshl_or_b32 v2, v6, 16, v2
	global_store_dword v[4:5], v2, off
	global_load_dword v6, v11, s[12:13]
	v_mad_u64_u32 v[4:5], s[0:1], s8, v10, 0
	v_mov_b32_e32 v2, v5
	v_lshrrev_b32_e32 v5, 16, v3
	s_waitcnt vmcnt(0)
	v_mul_f16_sdwa v7, v5, v6 dst_sel:DWORD dst_unused:UNUSED_PAD src0_sel:DWORD src1_sel:WORD_1
	v_mul_f16_sdwa v8, v3, v6 dst_sel:DWORD dst_unused:UNUSED_PAD src0_sel:DWORD src1_sel:WORD_1
	v_fma_f16 v3, v3, v6, v7
	v_fma_f16 v5, v6, v5, -v8
	v_cvt_f32_f16_e32 v6, v3
	v_cvt_f32_f16_e32 v7, v5
	v_mad_u64_u32 v[2:3], s[0:1], s9, v10, v[2:3]
	v_mov_b32_e32 v5, v2
	v_cvt_f64_f32_e32 v[2:3], v6
	v_cvt_f64_f32_e32 v[6:7], v7
	v_mul_f64 v[2:3], v[2:3], s[6:7]
	v_mul_f64 v[6:7], v[6:7], s[6:7]
	v_and_or_b32 v2, v3, s16, v2
	v_and_or_b32 v6, v7, s16, v6
	v_cmp_ne_u32_e32 vcc, 0, v2
	v_lshrrev_b32_e32 v8, 8, v3
	v_bfe_u32 v9, v3, 20, 11
	v_cndmask_b32_e64 v2, 0, 1, vcc
	v_cmp_ne_u32_e32 vcc, 0, v6
	v_lshrrev_b32_e32 v10, 8, v7
	v_bfe_u32 v11, v7, 20, 11
	v_sub_u32_e32 v12, 0x3f1, v9
	v_cndmask_b32_e64 v6, 0, 1, vcc
	v_and_or_b32 v2, v8, s15, v2
	v_sub_u32_e32 v14, 0x3f1, v11
	v_med3_i32 v8, v12, 0, 13
	v_and_or_b32 v6, v10, s15, v6
	v_or_b32_e32 v12, 0x1000, v2
	v_add_u32_e32 v9, 0xfffffc10, v9
	v_med3_i32 v10, v14, 0, 13
	v_cmp_ne_u32_e32 vcc, 0, v2
	v_or_b32_e32 v15, 0x1000, v6
	v_lshrrev_b32_e32 v17, v8, v12
	v_add_u32_e32 v11, 0xfffffc10, v11
	v_lshl_or_b32 v14, v9, 12, v2
	v_cndmask_b32_e64 v2, 0, 1, vcc
	v_cmp_ne_u32_e32 vcc, 0, v6
	v_lshrrev_b32_e32 v18, v10, v15
	v_lshlrev_b32_e32 v8, v8, v17
	v_lshl_or_b32 v16, v11, 12, v6
	v_cndmask_b32_e64 v6, 0, 1, vcc
	v_lshlrev_b32_e32 v10, v10, v18
	v_cmp_ne_u32_e32 vcc, v8, v12
	v_lshl_or_b32 v2, v2, 9, v13
	v_lshl_or_b32 v6, v6, 9, v13
	v_cndmask_b32_e64 v8, 0, 1, vcc
	v_cmp_ne_u32_e32 vcc, v10, v15
	v_or_b32_e32 v8, v17, v8
	v_and_b32_sdwa v3, v3, s14 dst_sel:DWORD dst_unused:UNUSED_PAD src0_sel:WORD_1 src1_sel:DWORD
	v_cndmask_b32_e64 v10, 0, 1, vcc
	v_cmp_gt_i32_e32 vcc, 1, v9
	v_or_b32_e32 v10, v18, v10
	v_lshrrev_b32_e32 v7, 16, v7
	v_cndmask_b32_e32 v8, v14, v8, vcc
	v_cmp_gt_i32_e32 vcc, 1, v11
	v_and_b32_e32 v12, 7, v8
	v_cmp_eq_u32_e64 s[0:1], 3, v12
	v_cndmask_b32_e32 v10, v16, v10, vcc
	v_cmp_lt_i32_e32 vcc, 5, v12
	v_lshrrev_b32_e32 v8, 2, v8
	v_and_b32_e32 v14, 7, v10
	s_or_b64 vcc, s[0:1], vcc
	v_cmp_lt_i32_e64 s[2:3], 5, v14
	v_cmp_eq_u32_e64 s[4:5], 3, v14
	v_addc_co_u32_e32 v8, vcc, 0, v8, vcc
	v_lshrrev_b32_e32 v10, 2, v10
	s_or_b64 vcc, s[4:5], s[2:3]
	v_addc_co_u32_e32 v10, vcc, 0, v10, vcc
	v_cmp_gt_i32_e32 vcc, 31, v9
	v_lshl_add_u64 v[0:1], v[4:5], 2, v[0:1]
	s_nop 0
	v_cndmask_b32_e32 v8, v13, v8, vcc
	v_cmp_gt_i32_e32 vcc, 31, v11
	s_nop 1
	v_cndmask_b32_e32 v10, v13, v10, vcc
	v_cmp_eq_u32_e32 vcc, s10, v9
	s_nop 1
	v_cndmask_b32_e32 v2, v8, v2, vcc
	v_cmp_eq_u32_e32 vcc, s10, v11
	v_bitop3_b32 v2, v3, s17, v2 bitop3:0xc8
	s_nop 0
	v_cndmask_b32_e32 v6, v10, v6, vcc
	v_and_or_b32 v6, v7, s14, v6
	v_lshl_or_b32 v2, v6, 16, v2
	global_store_dword v[0:1], v2, off
.LBB0_15:
	s_endpgm
	.section	.rodata,"a",@progbits
	.p2align	6, 0x0
	.amdhsa_kernel bluestein_single_fwd_len1088_dim1_half_op_CI_CI
		.amdhsa_group_segment_fixed_size 13056
		.amdhsa_private_segment_fixed_size 0
		.amdhsa_kernarg_size 104
		.amdhsa_user_sgpr_count 2
		.amdhsa_user_sgpr_dispatch_ptr 0
		.amdhsa_user_sgpr_queue_ptr 0
		.amdhsa_user_sgpr_kernarg_segment_ptr 1
		.amdhsa_user_sgpr_dispatch_id 0
		.amdhsa_user_sgpr_kernarg_preload_length 0
		.amdhsa_user_sgpr_kernarg_preload_offset 0
		.amdhsa_user_sgpr_private_segment_size 0
		.amdhsa_uses_dynamic_stack 0
		.amdhsa_enable_private_segment 0
		.amdhsa_system_sgpr_workgroup_id_x 1
		.amdhsa_system_sgpr_workgroup_id_y 0
		.amdhsa_system_sgpr_workgroup_id_z 0
		.amdhsa_system_sgpr_workgroup_info 0
		.amdhsa_system_vgpr_workitem_id 0
		.amdhsa_next_free_vgpr 244
		.amdhsa_next_free_sgpr 35
		.amdhsa_accum_offset 244
		.amdhsa_reserve_vcc 1
		.amdhsa_float_round_mode_32 0
		.amdhsa_float_round_mode_16_64 0
		.amdhsa_float_denorm_mode_32 3
		.amdhsa_float_denorm_mode_16_64 3
		.amdhsa_dx10_clamp 1
		.amdhsa_ieee_mode 1
		.amdhsa_fp16_overflow 0
		.amdhsa_tg_split 0
		.amdhsa_exception_fp_ieee_invalid_op 0
		.amdhsa_exception_fp_denorm_src 0
		.amdhsa_exception_fp_ieee_div_zero 0
		.amdhsa_exception_fp_ieee_overflow 0
		.amdhsa_exception_fp_ieee_underflow 0
		.amdhsa_exception_fp_ieee_inexact 0
		.amdhsa_exception_int_div_zero 0
	.end_amdhsa_kernel
	.text
.Lfunc_end0:
	.size	bluestein_single_fwd_len1088_dim1_half_op_CI_CI, .Lfunc_end0-bluestein_single_fwd_len1088_dim1_half_op_CI_CI
                                        ; -- End function
	.section	.AMDGPU.csdata,"",@progbits
; Kernel info:
; codeLenInByte = 30988
; NumSgprs: 41
; NumVgprs: 244
; NumAgprs: 0
; TotalNumVgprs: 244
; ScratchSize: 0
; MemoryBound: 0
; FloatMode: 240
; IeeeMode: 1
; LDSByteSize: 13056 bytes/workgroup (compile time only)
; SGPRBlocks: 5
; VGPRBlocks: 30
; NumSGPRsForWavesPerEU: 41
; NumVGPRsForWavesPerEU: 244
; AccumOffset: 244
; Occupancy: 2
; WaveLimiterHint : 1
; COMPUTE_PGM_RSRC2:SCRATCH_EN: 0
; COMPUTE_PGM_RSRC2:USER_SGPR: 2
; COMPUTE_PGM_RSRC2:TRAP_HANDLER: 0
; COMPUTE_PGM_RSRC2:TGID_X_EN: 1
; COMPUTE_PGM_RSRC2:TGID_Y_EN: 0
; COMPUTE_PGM_RSRC2:TGID_Z_EN: 0
; COMPUTE_PGM_RSRC2:TIDIG_COMP_CNT: 0
; COMPUTE_PGM_RSRC3_GFX90A:ACCUM_OFFSET: 60
; COMPUTE_PGM_RSRC3_GFX90A:TG_SPLIT: 0
	.text
	.p2alignl 6, 3212836864
	.fill 256, 4, 3212836864
	.type	__hip_cuid_779c0b720f37ed82,@object ; @__hip_cuid_779c0b720f37ed82
	.section	.bss,"aw",@nobits
	.globl	__hip_cuid_779c0b720f37ed82
__hip_cuid_779c0b720f37ed82:
	.byte	0                               ; 0x0
	.size	__hip_cuid_779c0b720f37ed82, 1

	.ident	"AMD clang version 19.0.0git (https://github.com/RadeonOpenCompute/llvm-project roc-6.4.0 25133 c7fe45cf4b819c5991fe208aaa96edf142730f1d)"
	.section	".note.GNU-stack","",@progbits
	.addrsig
	.addrsig_sym __hip_cuid_779c0b720f37ed82
	.amdgpu_metadata
---
amdhsa.kernels:
  - .agpr_count:     0
    .args:
      - .actual_access:  read_only
        .address_space:  global
        .offset:         0
        .size:           8
        .value_kind:     global_buffer
      - .actual_access:  read_only
        .address_space:  global
        .offset:         8
        .size:           8
        .value_kind:     global_buffer
      - .actual_access:  read_only
        .address_space:  global
        .offset:         16
        .size:           8
        .value_kind:     global_buffer
      - .actual_access:  read_only
        .address_space:  global
        .offset:         24
        .size:           8
        .value_kind:     global_buffer
      - .actual_access:  read_only
        .address_space:  global
        .offset:         32
        .size:           8
        .value_kind:     global_buffer
      - .offset:         40
        .size:           8
        .value_kind:     by_value
      - .address_space:  global
        .offset:         48
        .size:           8
        .value_kind:     global_buffer
      - .address_space:  global
        .offset:         56
        .size:           8
        .value_kind:     global_buffer
      - .address_space:  global
        .offset:         64
        .size:           8
        .value_kind:     global_buffer
      - .address_space:  global
        .offset:         72
        .size:           8
        .value_kind:     global_buffer
      - .offset:         80
        .size:           4
        .value_kind:     by_value
      - .address_space:  global
        .offset:         88
        .size:           8
        .value_kind:     global_buffer
      - .address_space:  global
        .offset:         96
        .size:           8
        .value_kind:     global_buffer
    .group_segment_fixed_size: 13056
    .kernarg_segment_align: 8
    .kernarg_segment_size: 104
    .language:       OpenCL C
    .language_version:
      - 2
      - 0
    .max_flat_workgroup_size: 204
    .name:           bluestein_single_fwd_len1088_dim1_half_op_CI_CI
    .private_segment_fixed_size: 0
    .sgpr_count:     41
    .sgpr_spill_count: 0
    .symbol:         bluestein_single_fwd_len1088_dim1_half_op_CI_CI.kd
    .uniform_work_group_size: 1
    .uses_dynamic_stack: false
    .vgpr_count:     244
    .vgpr_spill_count: 0
    .wavefront_size: 64
amdhsa.target:   amdgcn-amd-amdhsa--gfx950
amdhsa.version:
  - 1
  - 2
...

	.end_amdgpu_metadata
